;; amdgpu-corpus repo=ROCm/rocFFT kind=compiled arch=gfx1030 opt=O3
	.text
	.amdgcn_target "amdgcn-amd-amdhsa--gfx1030"
	.amdhsa_code_object_version 6
	.protected	fft_rtc_back_len3240_factors_3_3_10_6_6_wgs_108_tpt_108_halfLds_dp_op_CI_CI_unitstride_sbrr_R2C_dirReg ; -- Begin function fft_rtc_back_len3240_factors_3_3_10_6_6_wgs_108_tpt_108_halfLds_dp_op_CI_CI_unitstride_sbrr_R2C_dirReg
	.globl	fft_rtc_back_len3240_factors_3_3_10_6_6_wgs_108_tpt_108_halfLds_dp_op_CI_CI_unitstride_sbrr_R2C_dirReg
	.p2align	8
	.type	fft_rtc_back_len3240_factors_3_3_10_6_6_wgs_108_tpt_108_halfLds_dp_op_CI_CI_unitstride_sbrr_R2C_dirReg,@function
fft_rtc_back_len3240_factors_3_3_10_6_6_wgs_108_tpt_108_halfLds_dp_op_CI_CI_unitstride_sbrr_R2C_dirReg: ; @fft_rtc_back_len3240_factors_3_3_10_6_6_wgs_108_tpt_108_halfLds_dp_op_CI_CI_unitstride_sbrr_R2C_dirReg
; %bb.0:
	s_clause 0x2
	s_load_dwordx4 s[12:15], s[4:5], 0x0
	s_load_dwordx4 s[8:11], s[4:5], 0x58
	;; [unrolled: 1-line block ×3, first 2 shown]
	v_mul_u32_u24_e32 v1, 0x25f, v0
	v_mov_b32_e32 v3, 0
	v_add_nc_u32_sdwa v5, s6, v1 dst_sel:DWORD dst_unused:UNUSED_PAD src0_sel:DWORD src1_sel:WORD_1
	v_mov_b32_e32 v1, 0
	v_mov_b32_e32 v6, v3
	v_mov_b32_e32 v2, 0
	s_waitcnt lgkmcnt(0)
	v_cmp_lt_u64_e64 s0, s[14:15], 2
	s_and_b32 vcc_lo, exec_lo, s0
	s_cbranch_vccnz .LBB0_8
; %bb.1:
	s_load_dwordx2 s[0:1], s[4:5], 0x10
	v_mov_b32_e32 v1, 0
	v_mov_b32_e32 v2, 0
	s_add_u32 s2, s18, 8
	s_addc_u32 s3, s19, 0
	s_add_u32 s6, s16, 8
	s_addc_u32 s7, s17, 0
	v_mov_b32_e32 v115, v2
	v_mov_b32_e32 v114, v1
	s_mov_b64 s[22:23], 1
	s_waitcnt lgkmcnt(0)
	s_add_u32 s20, s0, 8
	s_addc_u32 s21, s1, 0
.LBB0_2:                                ; =>This Inner Loop Header: Depth=1
	s_load_dwordx2 s[24:25], s[20:21], 0x0
                                        ; implicit-def: $vgpr118_vgpr119
	s_mov_b32 s0, exec_lo
	s_waitcnt lgkmcnt(0)
	v_or_b32_e32 v4, s25, v6
	v_cmpx_ne_u64_e32 0, v[3:4]
	s_xor_b32 s1, exec_lo, s0
	s_cbranch_execz .LBB0_4
; %bb.3:                                ;   in Loop: Header=BB0_2 Depth=1
	v_cvt_f32_u32_e32 v4, s24
	v_cvt_f32_u32_e32 v7, s25
	s_sub_u32 s0, 0, s24
	s_subb_u32 s26, 0, s25
	v_fmac_f32_e32 v4, 0x4f800000, v7
	v_rcp_f32_e32 v4, v4
	v_mul_f32_e32 v4, 0x5f7ffffc, v4
	v_mul_f32_e32 v7, 0x2f800000, v4
	v_trunc_f32_e32 v7, v7
	v_fmac_f32_e32 v4, 0xcf800000, v7
	v_cvt_u32_f32_e32 v7, v7
	v_cvt_u32_f32_e32 v4, v4
	v_mul_lo_u32 v8, s0, v7
	v_mul_hi_u32 v9, s0, v4
	v_mul_lo_u32 v10, s26, v4
	v_add_nc_u32_e32 v8, v9, v8
	v_mul_lo_u32 v9, s0, v4
	v_add_nc_u32_e32 v8, v8, v10
	v_mul_hi_u32 v10, v4, v9
	v_mul_lo_u32 v11, v4, v8
	v_mul_hi_u32 v12, v4, v8
	v_mul_hi_u32 v13, v7, v9
	v_mul_lo_u32 v9, v7, v9
	v_mul_hi_u32 v14, v7, v8
	v_mul_lo_u32 v8, v7, v8
	v_add_co_u32 v10, vcc_lo, v10, v11
	v_add_co_ci_u32_e32 v11, vcc_lo, 0, v12, vcc_lo
	v_add_co_u32 v9, vcc_lo, v10, v9
	v_add_co_ci_u32_e32 v9, vcc_lo, v11, v13, vcc_lo
	v_add_co_ci_u32_e32 v10, vcc_lo, 0, v14, vcc_lo
	v_add_co_u32 v8, vcc_lo, v9, v8
	v_add_co_ci_u32_e32 v9, vcc_lo, 0, v10, vcc_lo
	v_add_co_u32 v4, vcc_lo, v4, v8
	v_add_co_ci_u32_e32 v7, vcc_lo, v7, v9, vcc_lo
	v_mul_hi_u32 v8, s0, v4
	v_mul_lo_u32 v10, s26, v4
	v_mul_lo_u32 v9, s0, v7
	v_add_nc_u32_e32 v8, v8, v9
	v_mul_lo_u32 v9, s0, v4
	v_add_nc_u32_e32 v8, v8, v10
	v_mul_hi_u32 v10, v4, v9
	v_mul_lo_u32 v11, v4, v8
	v_mul_hi_u32 v12, v4, v8
	v_mul_hi_u32 v13, v7, v9
	v_mul_lo_u32 v9, v7, v9
	v_mul_hi_u32 v14, v7, v8
	v_mul_lo_u32 v8, v7, v8
	v_add_co_u32 v10, vcc_lo, v10, v11
	v_add_co_ci_u32_e32 v11, vcc_lo, 0, v12, vcc_lo
	v_add_co_u32 v9, vcc_lo, v10, v9
	v_add_co_ci_u32_e32 v9, vcc_lo, v11, v13, vcc_lo
	v_add_co_ci_u32_e32 v10, vcc_lo, 0, v14, vcc_lo
	v_add_co_u32 v8, vcc_lo, v9, v8
	v_add_co_ci_u32_e32 v9, vcc_lo, 0, v10, vcc_lo
	v_add_co_u32 v4, vcc_lo, v4, v8
	v_add_co_ci_u32_e32 v11, vcc_lo, v7, v9, vcc_lo
	v_mul_hi_u32 v13, v5, v4
	v_mad_u64_u32 v[9:10], null, v6, v4, 0
	v_mad_u64_u32 v[7:8], null, v5, v11, 0
	;; [unrolled: 1-line block ×3, first 2 shown]
	v_add_co_u32 v4, vcc_lo, v13, v7
	v_add_co_ci_u32_e32 v7, vcc_lo, 0, v8, vcc_lo
	v_add_co_u32 v4, vcc_lo, v4, v9
	v_add_co_ci_u32_e32 v4, vcc_lo, v7, v10, vcc_lo
	v_add_co_ci_u32_e32 v7, vcc_lo, 0, v12, vcc_lo
	v_add_co_u32 v4, vcc_lo, v4, v11
	v_add_co_ci_u32_e32 v9, vcc_lo, 0, v7, vcc_lo
	v_mul_lo_u32 v10, s25, v4
	v_mad_u64_u32 v[7:8], null, s24, v4, 0
	v_mul_lo_u32 v11, s24, v9
	v_sub_co_u32 v7, vcc_lo, v5, v7
	v_add3_u32 v8, v8, v11, v10
	v_sub_nc_u32_e32 v10, v6, v8
	v_subrev_co_ci_u32_e64 v10, s0, s25, v10, vcc_lo
	v_add_co_u32 v11, s0, v4, 2
	v_add_co_ci_u32_e64 v12, s0, 0, v9, s0
	v_sub_co_u32 v13, s0, v7, s24
	v_sub_co_ci_u32_e32 v8, vcc_lo, v6, v8, vcc_lo
	v_subrev_co_ci_u32_e64 v10, s0, 0, v10, s0
	v_cmp_le_u32_e32 vcc_lo, s24, v13
	v_cmp_eq_u32_e64 s0, s25, v8
	v_cndmask_b32_e64 v13, 0, -1, vcc_lo
	v_cmp_le_u32_e32 vcc_lo, s25, v10
	v_cndmask_b32_e64 v14, 0, -1, vcc_lo
	v_cmp_le_u32_e32 vcc_lo, s24, v7
	;; [unrolled: 2-line block ×3, first 2 shown]
	v_cndmask_b32_e64 v15, 0, -1, vcc_lo
	v_cmp_eq_u32_e32 vcc_lo, s25, v10
	v_cndmask_b32_e64 v7, v15, v7, s0
	v_cndmask_b32_e32 v10, v14, v13, vcc_lo
	v_add_co_u32 v13, vcc_lo, v4, 1
	v_add_co_ci_u32_e32 v14, vcc_lo, 0, v9, vcc_lo
	v_cmp_ne_u32_e32 vcc_lo, 0, v10
	v_cndmask_b32_e32 v8, v14, v12, vcc_lo
	v_cndmask_b32_e32 v10, v13, v11, vcc_lo
	v_cmp_ne_u32_e32 vcc_lo, 0, v7
	v_cndmask_b32_e32 v119, v9, v8, vcc_lo
	v_cndmask_b32_e32 v118, v4, v10, vcc_lo
.LBB0_4:                                ;   in Loop: Header=BB0_2 Depth=1
	s_andn2_saveexec_b32 s0, s1
	s_cbranch_execz .LBB0_6
; %bb.5:                                ;   in Loop: Header=BB0_2 Depth=1
	v_cvt_f32_u32_e32 v4, s24
	s_sub_i32 s1, 0, s24
	v_mov_b32_e32 v119, v3
	v_rcp_iflag_f32_e32 v4, v4
	v_mul_f32_e32 v4, 0x4f7ffffe, v4
	v_cvt_u32_f32_e32 v4, v4
	v_mul_lo_u32 v7, s1, v4
	v_mul_hi_u32 v7, v4, v7
	v_add_nc_u32_e32 v4, v4, v7
	v_mul_hi_u32 v4, v5, v4
	v_mul_lo_u32 v7, v4, s24
	v_add_nc_u32_e32 v8, 1, v4
	v_sub_nc_u32_e32 v7, v5, v7
	v_subrev_nc_u32_e32 v9, s24, v7
	v_cmp_le_u32_e32 vcc_lo, s24, v7
	v_cndmask_b32_e32 v7, v7, v9, vcc_lo
	v_cndmask_b32_e32 v4, v4, v8, vcc_lo
	v_cmp_le_u32_e32 vcc_lo, s24, v7
	v_add_nc_u32_e32 v8, 1, v4
	v_cndmask_b32_e32 v118, v4, v8, vcc_lo
.LBB0_6:                                ;   in Loop: Header=BB0_2 Depth=1
	s_or_b32 exec_lo, exec_lo, s0
	v_mul_lo_u32 v4, v119, s24
	v_mul_lo_u32 v9, v118, s25
	s_load_dwordx2 s[0:1], s[6:7], 0x0
	v_mad_u64_u32 v[7:8], null, v118, s24, 0
	s_load_dwordx2 s[24:25], s[2:3], 0x0
	s_add_u32 s22, s22, 1
	s_addc_u32 s23, s23, 0
	s_add_u32 s2, s2, 8
	s_addc_u32 s3, s3, 0
	s_add_u32 s6, s6, 8
	v_add3_u32 v4, v8, v9, v4
	v_sub_co_u32 v5, vcc_lo, v5, v7
	s_addc_u32 s7, s7, 0
	s_add_u32 s20, s20, 8
	v_sub_co_ci_u32_e32 v4, vcc_lo, v6, v4, vcc_lo
	s_addc_u32 s21, s21, 0
	s_waitcnt lgkmcnt(0)
	v_mul_lo_u32 v6, s0, v4
	v_mul_lo_u32 v7, s1, v5
	v_mad_u64_u32 v[1:2], null, s0, v5, v[1:2]
	v_mul_lo_u32 v4, s24, v4
	v_mul_lo_u32 v8, s25, v5
	v_mad_u64_u32 v[114:115], null, s24, v5, v[114:115]
	v_cmp_ge_u64_e64 s0, s[22:23], s[14:15]
	v_add3_u32 v2, v7, v2, v6
	v_add3_u32 v115, v8, v115, v4
	s_and_b32 vcc_lo, exec_lo, s0
	s_cbranch_vccnz .LBB0_9
; %bb.7:                                ;   in Loop: Header=BB0_2 Depth=1
	v_mov_b32_e32 v5, v118
	v_mov_b32_e32 v6, v119
	s_branch .LBB0_2
.LBB0_8:
	v_mov_b32_e32 v115, v2
	v_mov_b32_e32 v119, v6
	;; [unrolled: 1-line block ×4, first 2 shown]
.LBB0_9:
	s_load_dwordx2 s[0:1], s[4:5], 0x28
	v_mul_hi_u32 v3, 0x25ed098, v0
	s_lshl_b64 s[4:5], s[14:15], 3
                                        ; implicit-def: $vgpr112
                                        ; implicit-def: $vgpr116
                                        ; implicit-def: $vgpr127
                                        ; implicit-def: $vgpr126
                                        ; implicit-def: $vgpr125
                                        ; implicit-def: $vgpr124
                                        ; implicit-def: $vgpr123
                                        ; implicit-def: $vgpr122
                                        ; implicit-def: $vgpr121
                                        ; implicit-def: $vgpr120
	s_add_u32 s2, s18, s4
	s_addc_u32 s3, s19, s5
	s_waitcnt lgkmcnt(0)
	v_cmp_gt_u64_e32 vcc_lo, s[0:1], v[118:119]
	v_cmp_le_u64_e64 s0, s[0:1], v[118:119]
	s_and_saveexec_b32 s1, s0
	s_xor_b32 s0, exec_lo, s1
; %bb.10:
	v_mul_u32_u24_e32 v1, 0x6c, v3
                                        ; implicit-def: $vgpr3
	v_sub_nc_u32_e32 v112, v0, v1
                                        ; implicit-def: $vgpr0
                                        ; implicit-def: $vgpr1_vgpr2
	v_add_nc_u32_e32 v116, 0x6c, v112
	v_add_nc_u32_e32 v127, 0xd8, v112
	;; [unrolled: 1-line block ×9, first 2 shown]
; %bb.11:
	s_andn2_saveexec_b32 s1, s0
	s_cbranch_execz .LBB0_13
; %bb.12:
	s_add_u32 s4, s16, s4
	s_addc_u32 s5, s17, s5
	v_lshlrev_b64 v[1:2], 4, v[1:2]
	s_load_dwordx2 s[4:5], s[4:5], 0x0
	s_waitcnt lgkmcnt(0)
	v_mul_lo_u32 v6, s5, v118
	v_mul_lo_u32 v7, s4, v119
	v_mad_u64_u32 v[4:5], null, s4, v118, 0
	v_add3_u32 v5, v5, v7, v6
	v_mul_u32_u24_e32 v6, 0x6c, v3
	v_lshlrev_b64 v[3:4], 4, v[4:5]
	v_sub_nc_u32_e32 v112, v0, v6
	v_lshlrev_b32_e32 v113, 4, v112
	v_add_co_u32 v0, s0, s8, v3
	v_add_co_ci_u32_e64 v3, s0, s9, v4, s0
	v_add_nc_u32_e32 v127, 0xd8, v112
	v_add_co_u32 v0, s0, v0, v1
	v_add_co_ci_u32_e64 v1, s0, v3, v2, s0
	v_add_nc_u32_e32 v126, 0x144, v112
	v_add_co_u32 v72, s0, v0, v113
	v_add_co_ci_u32_e64 v73, s0, 0, v1, s0
	s_clause 0x1
	global_load_dwordx4 v[0:3], v[72:73], off
	global_load_dwordx4 v[4:7], v[72:73], off offset:1728
	v_add_co_u32 v8, s0, 0x800, v72
	v_add_co_ci_u32_e64 v9, s0, 0, v73, s0
	v_add_co_u32 v12, s0, 0x1000, v72
	v_add_co_ci_u32_e64 v13, s0, 0, v73, s0
	;; [unrolled: 2-line block ×23, first 2 shown]
	v_add_co_u32 v120, s0, 0xc000, v72
	s_clause 0xf
	global_load_dwordx4 v[8:11], v[8:9], off offset:1408
	global_load_dwordx4 v[12:15], v[12:13], off offset:1088
	;; [unrolled: 1-line block ×16, first 2 shown]
	v_add_co_ci_u32_e64 v121, s0, 0, v73, s0
	s_clause 0xb
	global_load_dwordx4 v[72:75], v[74:75], off offset:384
	global_load_dwordx4 v[76:79], v[80:81], off offset:64
	;; [unrolled: 1-line block ×12, first 2 shown]
	v_add_nc_u32_e32 v116, 0x6c, v112
	v_add_nc_u32_e32 v125, 0x1b0, v112
	v_add_nc_u32_e32 v124, 0x21c, v112
	v_add_nc_u32_e32 v113, 0, v113
	v_add_nc_u32_e32 v123, 0x288, v112
	v_add_nc_u32_e32 v122, 0x2f4, v112
	v_add_nc_u32_e32 v121, 0x360, v112
	v_add_nc_u32_e32 v120, 0x3cc, v112
	s_waitcnt vmcnt(29)
	ds_write_b128 v113, v[0:3]
	s_waitcnt vmcnt(28)
	ds_write_b128 v113, v[4:7] offset:1728
	s_waitcnt vmcnt(27)
	ds_write_b128 v113, v[8:11] offset:3456
	;; [unrolled: 2-line block ×29, first 2 shown]
.LBB0_13:
	s_or_b32 exec_lo, exec_lo, s1
	v_lshlrev_b32_e32 v113, 4, v112
	s_load_dwordx2 s[2:3], s[2:3], 0x0
	s_waitcnt lgkmcnt(0)
	s_barrier
	buffer_gl0_inv
	v_add_nc_u32_e32 v130, 0, v113
	s_mov_b32 s6, 0xe8584caa
	s_mov_b32 s7, 0xbfebb67a
	;; [unrolled: 1-line block ×4, first 2 shown]
	ds_read_b128 v[0:3], v130
	ds_read_b128 v[4:7], v130 offset:17280
	ds_read_b128 v[12:15], v130 offset:19008
	;; [unrolled: 1-line block ×22, first 2 shown]
	s_waitcnt lgkmcnt(21)
	v_add_f64 v[92:93], v[0:1], v[4:5]
	v_add_f64 v[94:95], v[2:3], v[6:7]
	s_waitcnt lgkmcnt(19)
	v_add_f64 v[96:97], v[20:21], v[12:13]
	v_add_f64 v[98:99], v[22:23], v[14:15]
	v_mad_i32_i24 v117, v116, 48, 0
	s_waitcnt lgkmcnt(16)
	v_add_f64 v[100:101], v[24:25], v[16:17]
	v_add_f64 v[102:103], v[26:27], v[18:19]
	s_waitcnt lgkmcnt(14)
	v_add_f64 v[104:105], v[32:33], v[28:29]
	s_waitcnt lgkmcnt(13)
	v_add_f64 v[108:109], v[4:5], v[36:37]
	v_add_f64 v[128:129], v[6:7], v[38:39]
	v_add_f64 v[110:111], v[6:7], -v[38:39]
	v_add_f64 v[131:132], v[4:5], -v[36:37]
	s_waitcnt lgkmcnt(11)
	v_add_f64 v[133:134], v[12:13], v[44:45]
	s_waitcnt lgkmcnt(8)
	v_add_f64 v[145:146], v[54:55], v[58:59]
	v_add_f64 v[4:5], v[52:53], v[56:57]
	;; [unrolled: 1-line block ×4, first 2 shown]
	v_add_f64 v[135:136], v[14:15], -v[46:47]
	v_add_f64 v[139:140], v[12:13], -v[44:45]
	v_add_f64 v[141:142], v[16:17], v[48:49]
	v_add_f64 v[143:144], v[18:19], -v[50:51]
	v_add_f64 v[147:148], v[18:19], v[50:51]
	v_add_f64 v[36:37], v[92:93], v[36:37]
	;; [unrolled: 1-line block ×3, first 2 shown]
	ds_read_b128 v[92:95], v130 offset:12096
	ds_read_b128 v[12:15], v130 offset:43200
	v_add_f64 v[44:45], v[96:97], v[44:45]
	v_add_f64 v[149:150], v[16:17], -v[48:49]
	v_add_f64 v[48:49], v[100:101], v[48:49]
	v_add_f64 v[50:51], v[102:103], v[50:51]
	s_waitcnt lgkmcnt(9)
	v_add_f64 v[96:97], v[104:105], v[60:61]
	ds_read_b128 v[100:103], v130 offset:13824
	ds_read_b128 v[104:107], v130 offset:31104
	s_waitcnt lgkmcnt(6)
	v_add_f64 v[151:152], v[68:69], v[80:81]
	v_add_f64 v[153:154], v[70:71], v[82:83]
	v_add_f64 v[157:158], v[30:31], -v[62:63]
	s_waitcnt lgkmcnt(5)
	v_add_f64 v[159:160], v[72:73], v[84:85]
	v_add_f64 v[161:162], v[74:75], v[86:87]
	;; [unrolled: 1-line block ×4, first 2 shown]
	v_fma_f64 v[108:109], v[108:109], -0.5, v[0:1]
	v_fma_f64 v[128:129], v[128:129], -0.5, v[2:3]
	v_add_f64 v[155:156], v[28:29], v[60:61]
	ds_read_b128 v[16:19], v130 offset:44928
	v_add_f64 v[165:166], v[28:29], -v[60:61]
	s_waitcnt lgkmcnt(4)
	v_add_f64 v[145:146], v[92:93], v[88:89]
	v_add_f64 v[167:168], v[94:95], v[90:91]
	;; [unrolled: 1-line block ×4, first 2 shown]
	v_add_f64 v[171:172], v[58:59], -v[66:67]
	v_add_f64 v[66:67], v[58:59], v[66:67]
	v_add_f64 v[64:65], v[56:57], -v[64:65]
	ds_read_b128 v[56:59], v130 offset:46656
	v_fma_f64 v[133:134], v[133:134], -0.5, v[20:21]
	v_fma_f64 v[137:138], v[137:138], -0.5, v[22:23]
	s_waitcnt lgkmcnt(2)
	v_add_f64 v[173:174], v[100:101], v[104:105]
	v_add_f64 v[175:176], v[102:103], v[106:107]
	v_add_f64 v[46:47], v[98:99], v[46:47]
	v_add_f64 v[98:99], v[6:7], v[62:63]
	ds_read_b128 v[60:63], v130 offset:48384
	v_fma_f64 v[141:142], v[141:142], -0.5, v[24:25]
	v_fma_f64 v[147:148], v[147:148], -0.5, v[26:27]
	v_add_f64 v[4:5], v[151:152], v[12:13]
	v_add_f64 v[6:7], v[153:154], v[14:15]
	;; [unrolled: 1-line block ×3, first 2 shown]
	v_add_f64 v[153:154], v[82:83], -v[14:15]
	v_add_f64 v[82:83], v[82:83], v[14:15]
	v_add_f64 v[80:81], v[80:81], -v[12:13]
	s_waitcnt lgkmcnt(2)
	v_add_f64 v[12:13], v[159:160], v[16:17]
	v_add_f64 v[14:15], v[161:162], v[18:19]
	;; [unrolled: 1-line block ×3, first 2 shown]
	v_add_f64 v[179:180], v[86:87], -v[18:19]
	v_add_f64 v[86:87], v[86:87], v[18:19]
	v_add_f64 v[84:85], v[84:85], -v[16:17]
	s_waitcnt lgkmcnt(1)
	v_add_f64 v[16:17], v[145:146], v[56:57]
	v_add_f64 v[18:19], v[167:168], v[58:59]
	;; [unrolled: 1-line block ×3, first 2 shown]
	v_add_f64 v[167:168], v[90:91], -v[58:59]
	v_add_f64 v[90:91], v[90:91], v[58:59]
	v_add_f64 v[88:89], v[88:89], -v[56:57]
	v_fma_f64 v[56:57], v[110:111], s[6:7], v[108:109]
	v_fma_f64 v[58:59], v[131:132], s[4:5], v[128:129]
	v_add_f64 v[159:160], v[8:9], v[40:41]
	v_add_f64 v[161:162], v[10:11], v[42:43]
	v_fma_f64 v[24:25], v[110:111], s[4:5], v[108:109]
	v_fma_f64 v[26:27], v[131:132], s[6:7], v[128:129]
	v_fma_f64 v[108:109], v[155:156], -0.5, v[32:33]
	v_fma_f64 v[110:111], v[163:164], -0.5, v[34:35]
	v_fma_f64 v[32:33], v[135:136], s[4:5], v[133:134]
	v_fma_f64 v[34:35], v[139:140], s[6:7], v[137:138]
	s_waitcnt lgkmcnt(0)
	v_add_f64 v[20:21], v[173:174], v[60:61]
	v_add_f64 v[22:23], v[175:176], v[62:63]
	v_add_f64 v[173:174], v[104:105], v[60:61]
	v_add_f64 v[175:176], v[106:107], -v[62:63]
	v_add_f64 v[106:107], v[106:107], v[62:63]
	v_add_f64 v[104:105], v[104:105], -v[60:61]
	v_fma_f64 v[60:61], v[135:136], s[6:7], v[133:134]
	v_fma_f64 v[62:63], v[139:140], s[4:5], v[137:138]
	v_fma_f64 v[128:129], v[169:170], -0.5, v[52:53]
	v_mad_u32_u24 v52, v112, 48, 0
	v_fma_f64 v[66:67], v[66:67], -0.5, v[54:55]
	s_barrier
	buffer_gl0_inv
	ds_write_b128 v52, v[36:39]
	ds_write_b128 v52, v[56:59] offset:16
	v_fma_f64 v[36:37], v[143:144], s[6:7], v[141:142]
	v_fma_f64 v[38:39], v[149:150], s[4:5], v[147:148]
	v_add_f64 v[0:1], v[159:160], v[76:77]
	v_add_f64 v[2:3], v[161:162], v[78:79]
	;; [unrolled: 1-line block ×3, first 2 shown]
	v_add_f64 v[161:162], v[42:43], -v[78:79]
	v_add_f64 v[78:79], v[42:43], v[78:79]
	v_add_f64 v[76:77], v[40:41], -v[76:77]
	v_fma_f64 v[40:41], v[143:144], s[4:5], v[141:142]
	v_fma_f64 v[42:43], v[149:150], s[6:7], v[147:148]
	ds_write_b128 v52, v[24:27] offset:32
	ds_write_b128 v117, v[44:47]
	ds_write_b128 v117, v[60:63] offset:16
	v_fma_f64 v[24:25], v[157:158], s[6:7], v[108:109]
	v_fma_f64 v[26:27], v[165:166], s[4:5], v[110:111]
	;; [unrolled: 1-line block ×4, first 2 shown]
	v_fma_f64 v[60:61], v[151:152], -0.5, v[68:69]
	ds_write_b128 v117, v[32:35] offset:32
	v_fma_f64 v[32:33], v[82:83], -0.5, v[70:71]
	v_mad_i32_i24 v62, v127, 48, 0
	v_fma_f64 v[54:55], v[64:65], s[4:5], v[66:67]
	v_fma_f64 v[58:59], v[64:65], s[6:7], v[66:67]
	v_mad_i32_i24 v66, v126, 48, 0
	v_fma_f64 v[52:53], v[171:172], s[6:7], v[128:129]
	ds_write_b128 v62, v[36:39] offset:16
	v_mad_i32_i24 v36, v125, 48, 0
	ds_write_b128 v62, v[48:51]
	v_fma_f64 v[34:35], v[177:178], -0.5, v[72:73]
	v_fma_f64 v[48:49], v[86:87], -0.5, v[74:75]
	;; [unrolled: 1-line block ×3, first 2 shown]
	ds_write_b128 v62, v[40:43] offset:32
	v_fma_f64 v[42:43], v[90:91], -0.5, v[94:95]
	v_fma_f64 v[50:51], v[173:174], -0.5, v[100:101]
	;; [unrolled: 1-line block ×3, first 2 shown]
	v_fma_f64 v[56:57], v[171:172], s[4:5], v[128:129]
	ds_write_b128 v66, v[96:99]
	ds_write_b128 v66, v[24:27] offset:16
	v_fma_f64 v[64:65], v[159:160], -0.5, v[8:9]
	ds_write_b128 v66, v[44:47] offset:32
	ds_write_b128 v36, v[28:31]
	v_fma_f64 v[66:67], v[78:79], -0.5, v[10:11]
	v_fma_f64 v[8:9], v[153:154], s[6:7], v[60:61]
	v_fma_f64 v[10:11], v[80:81], s[4:5], v[32:33]
	;; [unrolled: 1-line block ×3, first 2 shown]
	v_mad_i32_i24 v131, v124, 48, 0
	v_and_b32_e32 v80, 0xff, v112
	ds_write_b128 v36, v[52:55] offset:16
	ds_write_b128 v36, v[56:59] offset:32
	v_fma_f64 v[24:25], v[153:154], s[4:5], v[60:61]
	v_fma_f64 v[28:29], v[179:180], s[6:7], v[34:35]
	;; [unrolled: 1-line block ×15, first 2 shown]
	ds_write_b128 v131, v[4:7]
	ds_write_b128 v131, v[8:11] offset:16
	v_mul_lo_u16 v4, 0xab, v80
	v_fma_f64 v[56:57], v[161:162], s[4:5], v[64:65]
	v_fma_f64 v[58:59], v[76:77], s[6:7], v[66:67]
	v_and_b32_e32 v107, 0xff, v116
	v_mad_i32_i24 v135, v123, 48, 0
	v_lshrrev_b16 v100, 9, v4
	v_mad_i32_i24 v134, v122, 48, 0
	v_mad_i32_i24 v133, v121, 48, 0
	v_mov_b32_e32 v105, 5
	v_mov_b32_e32 v8, 0xaaab
	v_mul_lo_u16 v4, v100, 3
	v_mad_i32_i24 v132, v120, 48, 0
	ds_write_b128 v131, v[24:27] offset:32
	ds_write_b128 v135, v[12:15]
	ds_write_b128 v135, v[28:31] offset:16
	ds_write_b128 v135, v[32:35] offset:32
	v_sub_nc_u16 v90, v112, v4
	v_mul_lo_u16 v4, 0xab, v107
	ds_write_b128 v134, v[16:19]
	ds_write_b128 v134, v[36:39] offset:16
	ds_write_b128 v134, v[40:43] offset:32
	ds_write_b128 v133, v[20:23]
	ds_write_b128 v133, v[44:47] offset:16
	ds_write_b128 v133, v[48:51] offset:32
	ds_write_b128 v132, v[0:3]
	ds_write_b128 v132, v[52:55] offset:16
	v_lshlrev_b32_sdwa v0, v105, v90 dst_sel:DWORD dst_unused:UNUSED_PAD src0_sel:DWORD src1_sel:BYTE_0
	v_mul_u32_u24_sdwa v1, v127, v8 dst_sel:DWORD dst_unused:UNUSED_PAD src0_sel:WORD_0 src1_sel:DWORD
	v_lshrrev_b16 v86, 9, v4
	ds_write_b128 v132, v[56:59] offset:32
	s_waitcnt lgkmcnt(0)
	s_barrier
	buffer_gl0_inv
	s_clause 0x1
	global_load_dwordx4 v[28:31], v0, s[12:13]
	global_load_dwordx4 v[36:39], v0, s[12:13] offset:16
	v_lshrrev_b32_e32 v96, 17, v1
	v_mul_lo_u16 v2, v86, 3
	v_mul_u32_u24_sdwa v1, v126, v8 dst_sel:DWORD dst_unused:UNUSED_PAD src0_sel:WORD_0 src1_sel:DWORD
	v_mov_b32_e32 v186, 0x90
	v_mov_b32_e32 v106, 4
	v_mul_lo_u16 v0, v96, 3
	v_sub_nc_u16 v95, v116, v2
	v_lshrrev_b32_e32 v98, 17, v1
	v_mul_u32_u24_sdwa v100, v100, v186 dst_sel:DWORD dst_unused:UNUSED_PAD src0_sel:WORD_0 src1_sel:DWORD
	v_lshlrev_b32_e32 v117, 5, v122
	v_sub_nc_u16 v97, v127, v0
	v_lshlrev_b32_sdwa v2, v105, v95 dst_sel:DWORD dst_unused:UNUSED_PAD src0_sel:DWORD src1_sel:BYTE_0
	v_mul_lo_u16 v0, v98, 3
	s_mov_b32 s16, 0x134454ff
	s_mov_b32 s17, 0xbfee6f0e
	v_lshlrev_b32_sdwa v1, v105, v97 dst_sel:DWORD dst_unused:UNUSED_PAD src0_sel:DWORD src1_sel:WORD_0
	s_clause 0x1
	global_load_dwordx4 v[40:43], v2, s[12:13]
	global_load_dwordx4 v[32:35], v2, s[12:13] offset:16
	v_mul_u32_u24_sdwa v2, v125, v8 dst_sel:DWORD dst_unused:UNUSED_PAD src0_sel:WORD_0 src1_sel:DWORD
	v_sub_nc_u16 v99, v126, v0
	s_clause 0x1
	global_load_dwordx4 v[52:55], v1, s[12:13]
	global_load_dwordx4 v[48:51], v1, s[12:13] offset:16
	s_mov_b32 s1, 0x3fee6f0e
	v_lshrrev_b32_e32 v91, 17, v2
	v_lshlrev_b32_sdwa v0, v105, v99 dst_sel:DWORD dst_unused:UNUSED_PAD src0_sel:DWORD src1_sel:WORD_0
	v_mul_u32_u24_sdwa v2, v124, v8 dst_sel:DWORD dst_unused:UNUSED_PAD src0_sel:WORD_0 src1_sel:DWORD
	s_mov_b32 s0, s16
	s_mov_b32 s14, 0x4755a5e
	v_mul_lo_u16 v1, v91, 3
	s_clause 0x1
	global_load_dwordx4 v[44:47], v0, s[12:13]
	global_load_dwordx4 v[56:59], v0, s[12:13] offset:16
	v_lshrrev_b32_e32 v93, 17, v2
	v_mul_u32_u24_sdwa v2, v123, v8 dst_sel:DWORD dst_unused:UNUSED_PAD src0_sel:WORD_0 src1_sel:DWORD
	v_sub_nc_u16 v92, v125, v1
	s_mov_b32 s15, 0xbfe2cf23
	s_mov_b32 s9, 0x3fe2cf23
	v_mul_lo_u16 v1, v93, 3
	v_lshrrev_b32_e32 v85, 17, v2
	v_lshlrev_b32_sdwa v0, v105, v92 dst_sel:DWORD dst_unused:UNUSED_PAD src0_sel:DWORD src1_sel:WORD_0
	v_mul_u32_u24_sdwa v2, v122, v8 dst_sel:DWORD dst_unused:UNUSED_PAD src0_sel:WORD_0 src1_sel:DWORD
	s_mov_b32 s8, s14
	v_sub_nc_u16 v94, v124, v1
	v_mul_lo_u16 v1, v85, 3
	s_clause 0x1
	global_load_dwordx4 v[68:71], v0, s[12:13]
	global_load_dwordx4 v[60:63], v0, s[12:13] offset:16
	v_lshrrev_b32_e32 v87, 17, v2
	v_lshlrev_b32_sdwa v0, v105, v94 dst_sel:DWORD dst_unused:UNUSED_PAD src0_sel:DWORD src1_sel:WORD_0
	v_sub_nc_u16 v89, v123, v1
	s_mov_b32 s18, 0x372fe950
	s_mov_b32 s19, 0x3fd3c6ef
	v_mul_lo_u16 v1, v87, 3
	s_clause 0x1
	global_load_dwordx4 v[76:79], v0, s[12:13]
	global_load_dwordx4 v[72:75], v0, s[12:13] offset:16
	v_lshlrev_b32_sdwa v0, v105, v89 dst_sel:DWORD dst_unused:UNUSED_PAD src0_sel:DWORD src1_sel:WORD_0
	s_mov_b32 s24, 0x9b97f4a8
	v_sub_nc_u16 v88, v122, v1
	v_mul_u32_u24_sdwa v1, v121, v8 dst_sel:DWORD dst_unused:UNUSED_PAD src0_sel:WORD_0 src1_sel:DWORD
	v_mul_u32_u24_sdwa v8, v120, v8 dst_sel:DWORD dst_unused:UNUSED_PAD src0_sel:WORD_0 src1_sel:DWORD
	s_clause 0x1
	global_load_dwordx4 v[64:67], v0, s[12:13]
	global_load_dwordx4 v[4:7], v0, s[12:13] offset:16
	v_lshlrev_b32_sdwa v9, v105, v88 dst_sel:DWORD dst_unused:UNUSED_PAD src0_sel:DWORD src1_sel:WORD_0
	v_lshrrev_b32_e32 v81, 17, v1
	v_lshrrev_b32_e32 v82, 17, v8
	s_mov_b32 s25, 0x3fe9e377
	s_mov_b32 s23, 0xbfd3c6ef
	s_clause 0x1
	global_load_dwordx4 v[0:3], v9, s[12:13]
	global_load_dwordx4 v[20:23], v9, s[12:13] offset:16
	v_mul_lo_u16 v10, v81, 3
	v_mul_lo_u16 v8, v82, 3
	s_mov_b32 s21, 0xbfe9e377
	s_mov_b32 s22, s18
	;; [unrolled: 1-line block ×3, first 2 shown]
	v_sub_nc_u16 v84, v121, v10
	v_sub_nc_u16 v83, v120, v8
	v_lshlrev_b32_sdwa v9, v105, v84 dst_sel:DWORD dst_unused:UNUSED_PAD src0_sel:DWORD src1_sel:WORD_0
	v_lshlrev_b32_sdwa v24, v105, v83 dst_sel:DWORD dst_unused:UNUSED_PAD src0_sel:DWORD src1_sel:WORD_0
	s_clause 0x3
	global_load_dwordx4 v[16:19], v9, s[12:13]
	global_load_dwordx4 v[12:15], v9, s[12:13] offset:16
	global_load_dwordx4 v[8:11], v24, s[12:13]
	global_load_dwordx4 v[24:27], v24, s[12:13] offset:16
	ds_read_b128 v[101:104], v130 offset:17280
	ds_read_b128 v[108:111], v130 offset:34560
	;; [unrolled: 1-line block ×10, first 2 shown]
	s_waitcnt vmcnt(19) lgkmcnt(9)
	v_mul_f64 v[128:129], v[103:104], v[30:31]
	v_mul_f64 v[30:31], v[101:102], v[30:31]
	s_waitcnt vmcnt(18) lgkmcnt(8)
	v_mul_f64 v[168:169], v[110:111], v[38:39]
	v_mul_f64 v[38:39], v[108:109], v[38:39]
	;; [unrolled: 3-line block ×5, first 2 shown]
	v_fma_f64 v[101:102], v[101:102], v[28:29], v[128:129]
	v_fma_f64 v[128:129], v[103:104], v[28:29], -v[30:31]
	ds_read_b128 v[28:31], v130 offset:41472
	s_waitcnt vmcnt(14) lgkmcnt(5)
	v_mul_f64 v[103:104], v[150:151], v[50:51]
	v_mul_f64 v[178:179], v[148:149], v[50:51]
	v_fma_f64 v[108:109], v[108:109], v[36:37], v[168:169]
	v_fma_f64 v[110:111], v[110:111], v[36:37], -v[38:39]
	s_waitcnt vmcnt(13) lgkmcnt(3)
	v_mul_f64 v[168:169], v[158:159], v[46:47]
	v_mul_f64 v[180:181], v[156:157], v[46:47]
	s_waitcnt vmcnt(12) lgkmcnt(1)
	v_mul_f64 v[184:185], v[162:163], v[58:59]
	v_mul_f64 v[58:59], v[160:161], v[58:59]
	ds_read_b128 v[34:37], v130 offset:25920
	v_fma_f64 v[170:171], v[136:137], v[40:41], v[170:171]
	v_fma_f64 v[182:183], v[138:139], v[40:41], -v[42:43]
	v_fma_f64 v[172:173], v[140:141], v[32:33], v[172:173]
	v_fma_f64 v[174:175], v[142:143], v[32:33], -v[174:175]
	ds_read_b128 v[38:41], v130 offset:43200
	s_waitcnt vmcnt(11)
	v_mul_f64 v[32:33], v[166:167], v[70:71]
	v_fma_f64 v[146:147], v[146:147], v[52:53], -v[54:55]
	v_mul_f64 v[54:55], v[164:165], v[70:71]
	v_fma_f64 v[144:145], v[144:145], v[52:53], v[176:177]
	ds_read_b128 v[50:53], v130 offset:27648
	v_fma_f64 v[70:71], v[148:149], v[48:49], v[103:104]
	s_waitcnt vmcnt(10) lgkmcnt(3)
	v_mul_f64 v[103:104], v[30:31], v[62:63]
	v_mul_f64 v[62:63], v[28:29], v[62:63]
	v_fma_f64 v[148:149], v[150:151], v[48:49], -v[178:179]
	ds_read_b128 v[46:49], v130 offset:44928
	v_fma_f64 v[150:151], v[156:157], v[44:45], v[168:169]
	v_fma_f64 v[156:157], v[158:159], v[44:45], -v[180:181]
	s_waitcnt vmcnt(9) lgkmcnt(3)
	v_mul_f64 v[158:159], v[36:37], v[78:79]
	v_mul_f64 v[78:79], v[34:35], v[78:79]
	v_fma_f64 v[58:59], v[162:163], v[56:57], -v[58:59]
	ds_read_b128 v[42:45], v130 offset:29376
	v_fma_f64 v[160:161], v[160:161], v[56:57], v[184:185]
	v_lshl_add_u32 v139, v116, 4, 0
	v_lshl_add_u32 v138, v127, 4, 0
	s_waitcnt vmcnt(8) lgkmcnt(3)
	v_mul_f64 v[162:163], v[40:41], v[74:75]
	v_mul_f64 v[74:75], v[38:39], v[74:75]
	v_lshl_add_u32 v137, v126, 4, 0
	v_fma_f64 v[164:165], v[164:165], v[68:69], v[32:33]
	v_lshl_add_u32 v136, v125, 4, 0
	v_fma_f64 v[68:69], v[166:167], v[68:69], -v[54:55]
	s_waitcnt vmcnt(7) lgkmcnt(2)
	v_mul_f64 v[166:167], v[52:53], v[66:67]
	ds_read_b128 v[54:57], v130 offset:46656
	v_mul_f64 v[66:67], v[50:51], v[66:67]
	v_fma_f64 v[168:169], v[28:29], v[60:61], v[103:104]
	v_fma_f64 v[62:63], v[30:31], v[60:61], -v[62:63]
	s_waitcnt vmcnt(6) lgkmcnt(2)
	v_mul_f64 v[60:61], v[48:49], v[6:7]
	v_mul_f64 v[6:7], v[46:47], v[6:7]
	ds_read_b128 v[28:31], v130 offset:31104
	v_lshlrev_b32_e32 v141, 5, v124
	v_fma_f64 v[158:159], v[34:35], v[76:77], v[158:159]
	ds_read_b128 v[32:35], v130 offset:48384
	v_fma_f64 v[76:77], v[36:37], v[76:77], -v[78:79]
	s_waitcnt vmcnt(5) lgkmcnt(3)
	v_mul_f64 v[78:79], v[44:45], v[2:3]
	v_mul_f64 v[176:177], v[42:43], v[2:3]
	v_lshlrev_b32_e32 v142, 5, v123
	v_sub_nc_u32_e32 v103, v134, v117
	v_fma_f64 v[162:163], v[38:39], v[72:73], v[162:163]
	v_fma_f64 v[72:73], v[40:41], v[72:73], -v[74:75]
	v_sub_nc_u32_e32 v104, v131, v141
	v_lshlrev_b32_e32 v140, 5, v121
	v_lshlrev_b32_e32 v143, 5, v120
	s_waitcnt vmcnt(4) lgkmcnt(2)
	v_mul_f64 v[40:41], v[56:57], v[22:23]
	v_mul_f64 v[22:23], v[54:55], v[22:23]
	v_fma_f64 v[74:75], v[50:51], v[64:65], v[166:167]
	v_fma_f64 v[66:67], v[52:53], v[64:65], -v[66:67]
	ds_read_b128 v[36:39], v130
	ds_read_b128 v[50:53], v130 offset:50112
	v_mul_u32_u24_e32 v65, 0x90, v96
	v_fma_f64 v[166:167], v[46:47], v[4:5], v[60:61]
	v_fma_f64 v[178:179], v[48:49], v[4:5], -v[6:7]
	s_waitcnt vmcnt(3) lgkmcnt(3)
	v_mul_f64 v[6:7], v[30:31], v[18:19]
	v_mul_f64 v[18:19], v[28:29], v[18:19]
	s_waitcnt vmcnt(1)
	v_mul_f64 v[46:47], v[152:153], v[10:11]
	ds_read_b128 v[2:5], v139
	v_lshlrev_b32_sdwa v48, v106, v95 dst_sel:DWORD dst_unused:UNUSED_PAD src0_sel:DWORD src1_sel:BYTE_0
	v_fma_f64 v[78:79], v[42:43], v[0:1], v[78:79]
	v_fma_f64 v[176:177], v[44:45], v[0:1], -v[176:177]
	s_waitcnt lgkmcnt(3)
	v_mul_f64 v[0:1], v[34:35], v[14:15]
	v_mul_f64 v[42:43], v[32:33], v[14:15]
	v_mul_u32_u24_e32 v14, 0x90, v98
	v_lshlrev_b32_sdwa v15, v106, v90 dst_sel:DWORD dst_unused:UNUSED_PAD src0_sel:DWORD src1_sel:BYTE_0
	v_mul_f64 v[44:45], v[154:155], v[10:11]
	v_lshlrev_b32_sdwa v11, v106, v99 dst_sel:DWORD dst_unused:UNUSED_PAD src0_sel:DWORD src1_sel:WORD_0
	v_lshlrev_b32_sdwa v10, v106, v97 dst_sel:DWORD dst_unused:UNUSED_PAD src0_sel:DWORD src1_sel:WORD_0
	v_fma_f64 v[95:96], v[54:55], v[20:21], v[40:41]
	v_fma_f64 v[180:181], v[56:57], v[20:21], -v[22:23]
	s_waitcnt vmcnt(0) lgkmcnt(1)
	v_mul_f64 v[22:23], v[52:53], v[26:27]
	v_mul_f64 v[26:27], v[50:51], v[26:27]
	v_add3_u32 v195, 0, v100, v15
	v_add3_u32 v198, 0, v14, v11
	v_mul_u32_u24_sdwa v64, v86, v186 dst_sel:DWORD dst_unused:UNUSED_PAD src0_sel:WORD_0 src1_sel:DWORD
	v_add3_u32 v197, 0, v65, v10
	v_fma_f64 v[97:98], v[28:29], v[16:17], v[6:7]
	v_fma_f64 v[99:100], v[30:31], v[16:17], -v[18:19]
	ds_read_b128 v[14:17], v138
	ds_read_b128 v[18:21], v137
	v_add_f64 v[6:7], v[128:129], v[110:111]
	v_add_f64 v[28:29], v[38:39], v[128:129]
	;; [unrolled: 1-line block ×4, first 2 shown]
	v_fma_f64 v[184:185], v[32:33], v[12:13], v[0:1]
	v_add_f64 v[0:1], v[101:102], v[108:109]
	v_fma_f64 v[186:187], v[34:35], v[12:13], -v[42:43]
	v_add_f64 v[42:43], v[144:145], v[70:71]
	v_fma_f64 v[152:153], v[152:153], v[8:9], v[44:45]
	v_add_f64 v[32:33], v[182:183], v[174:175]
	v_add_f64 v[44:45], v[146:147], v[148:149]
	ds_read_b128 v[10:13], v136
	v_add_f64 v[56:57], v[156:157], v[58:59]
	v_fma_f64 v[188:189], v[50:51], v[24:25], v[22:23]
	v_add_f64 v[22:23], v[170:171], v[172:173]
	v_fma_f64 v[190:191], v[52:53], v[24:25], -v[26:27]
	s_waitcnt lgkmcnt(3)
	v_add_f64 v[24:25], v[4:5], v[182:183]
	v_add_f64 v[26:27], v[2:3], v[170:171]
	s_waitcnt lgkmcnt(2)
	v_add_f64 v[52:53], v[14:15], v[144:145]
	v_add_f64 v[50:51], v[16:17], v[146:147]
	v_sub_nc_u32_e32 v86, v135, v142
	v_fma_f64 v[154:155], v[154:155], v[8:9], -v[46:47]
	v_add_f64 v[34:35], v[128:129], -v[110:111]
	v_add_f64 v[40:41], v[101:102], -v[108:109]
	;; [unrolled: 1-line block ×3, first 2 shown]
	v_fma_f64 v[38:39], v[6:7], -0.5, v[38:39]
	v_add_f64 v[8:9], v[28:29], v[110:111]
	v_fma_f64 v[36:37], v[0:1], -0.5, v[36:37]
	v_add_f64 v[6:7], v[30:31], v[108:109]
	v_add_f64 v[101:102], v[164:165], v[168:169]
	;; [unrolled: 1-line block ×3, first 2 shown]
	v_add3_u32 v196, 0, v64, v48
	s_waitcnt lgkmcnt(1)
	v_add_f64 v[64:65], v[18:19], v[150:151]
	v_fma_f64 v[128:129], v[42:43], -0.5, v[14:15]
	v_add_f64 v[146:147], v[146:147], -v[148:149]
	v_add_f64 v[144:145], v[144:145], -v[70:71]
	v_fma_f64 v[108:109], v[22:23], -0.5, v[2:3]
	v_add_f64 v[48:49], v[170:171], -v[172:173]
	v_fma_f64 v[4:5], v[32:33], -0.5, v[4:5]
	v_fma_f64 v[170:171], v[44:45], -0.5, v[16:17]
	v_add_f64 v[30:31], v[52:53], v[70:71]
	s_waitcnt lgkmcnt(0)
	v_add_f64 v[70:71], v[12:13], v[68:69]
	v_add_f64 v[32:33], v[50:51], v[148:149]
	;; [unrolled: 1-line block ×7, first 2 shown]
	ds_read_b128 v[22:25], v103
	ds_read_b128 v[26:29], v86
	;; [unrolled: 1-line block ×3, first 2 shown]
	v_add_f64 v[60:61], v[20:21], v[156:157]
	v_add_f64 v[156:157], v[156:157], -v[58:59]
	v_add_f64 v[150:151], v[150:151], -v[160:161]
	v_fma_f64 v[172:173], v[54:55], -0.5, v[18:19]
	v_fma_f64 v[174:175], v[56:57], -0.5, v[20:21]
	;; [unrolled: 1-line block ×4, first 2 shown]
	v_fma_f64 v[10:11], v[34:35], s[6:7], v[36:37]
	v_fma_f64 v[34:35], v[34:35], s[4:5], v[36:37]
	;; [unrolled: 1-line block ×6, first 2 shown]
	v_add_f64 v[68:69], v[68:69], -v[62:63]
	v_add_f64 v[108:109], v[164:165], -v[168:169]
	v_add_f64 v[18:19], v[64:65], v[160:161]
	v_fma_f64 v[46:47], v[146:147], s[6:7], v[128:129]
	v_fma_f64 v[50:51], v[146:147], s[4:5], v[128:129]
	v_add_f64 v[64:65], v[70:71], v[62:63]
	s_waitcnt lgkmcnt(0)
	v_add_f64 v[70:71], v[16:17], v[76:77]
	v_add_f64 v[128:129], v[14:15], v[158:159]
	v_fma_f64 v[40:41], v[48:49], s[4:5], v[4:5]
	v_fma_f64 v[44:45], v[48:49], s[6:7], v[4:5]
	;; [unrolled: 1-line block ×4, first 2 shown]
	v_add_f64 v[62:63], v[148:149], v[168:169]
	v_add_f64 v[76:77], v[76:77], -v[72:73]
	v_add_f64 v[144:145], v[158:159], -v[162:163]
	v_fma_f64 v[146:147], v[182:183], -0.5, v[14:15]
	v_fma_f64 v[148:149], v[192:193], -0.5, v[16:17]
	v_add_f64 v[158:159], v[74:75], v[166:167]
	v_add_f64 v[20:21], v[60:61], v[58:59]
	v_sub_nc_u32_e32 v194, v133, v140
	v_add_f64 v[160:161], v[66:67], v[178:179]
	v_sub_nc_u32_e32 v90, v132, v143
	ds_read_b128 v[54:57], v194
	ds_read_b128 v[58:61], v90
	s_waitcnt lgkmcnt(0)
	s_barrier
	buffer_gl0_inv
	ds_write_b128 v195, v[6:9]
	v_fma_f64 v[4:5], v[156:157], s[6:7], v[172:173]
	v_fma_f64 v[6:7], v[150:151], s[4:5], v[174:175]
	;; [unrolled: 1-line block ×4, first 2 shown]
	ds_write_b128 v195, v[10:13] offset:48
	ds_write_b128 v195, v[34:37] offset:96
	ds_write_b128 v196, v[0:3]
	ds_write_b128 v196, v[38:41] offset:48
	ds_write_b128 v196, v[42:45] offset:96
	ds_write_b128 v197, v[30:33]
	ds_write_b128 v197, v[46:49] offset:48
	ds_write_b128 v197, v[50:53] offset:96
	ds_write_b128 v198, v[18:21]
	v_fma_f64 v[8:9], v[68:69], s[4:5], v[101:102]
	v_fma_f64 v[10:11], v[108:109], s[6:7], v[110:111]
	;; [unrolled: 1-line block ×4, first 2 shown]
	v_add_f64 v[20:21], v[70:71], v[72:73]
	v_add_f64 v[18:19], v[128:129], v[162:163]
	v_fma_f64 v[30:31], v[76:77], s[6:7], v[146:147]
	v_fma_f64 v[32:33], v[144:145], s[4:5], v[148:149]
	;; [unrolled: 1-line block ×4, first 2 shown]
	v_fma_f64 v[12:13], v[158:159], -0.5, v[26:27]
	v_add_f64 v[40:41], v[66:67], -v[178:179]
	v_mul_u32_u24_e32 v44, 0x90, v91
	v_add_f64 v[38:39], v[28:29], v[66:67]
	v_add_f64 v[26:27], v[26:27], v[74:75]
	v_lshlrev_b32_sdwa v45, v106, v92 dst_sel:DWORD dst_unused:UNUSED_PAD src0_sel:DWORD src1_sel:WORD_0
	v_fma_f64 v[28:29], v[160:161], -0.5, v[28:29]
	v_add_f64 v[42:43], v[74:75], -v[166:167]
	v_mul_u32_u24_e32 v46, 0x90, v93
	v_lshlrev_b32_sdwa v47, v106, v94 dst_sel:DWORD dst_unused:UNUSED_PAD src0_sel:DWORD src1_sel:WORD_0
	ds_write_b128 v198, v[4:7] offset:48
	v_add3_u32 v4, 0, v44, v45
	ds_write_b128 v198, v[14:17] offset:96
	v_add_f64 v[14:15], v[78:79], v[95:96]
	v_add3_u32 v5, 0, v46, v47
	v_add_f64 v[16:17], v[176:177], v[180:181]
	v_add_f64 v[44:45], v[97:98], v[184:185]
	ds_write_b128 v4, v[62:65]
	ds_write_b128 v4, v[0:3] offset:48
	ds_write_b128 v4, v[8:11] offset:96
	ds_write_b128 v5, v[18:21]
	ds_write_b128 v5, v[30:33] offset:48
	v_add_f64 v[18:19], v[99:100], v[186:187]
	v_add_f64 v[20:21], v[152:153], v[188:189]
	ds_write_b128 v5, v[34:37] offset:96
	v_mul_u32_u24_e32 v46, 0x90, v85
	v_fma_f64 v[4:5], v[40:41], s[6:7], v[12:13]
	v_fma_f64 v[8:9], v[40:41], s[4:5], v[12:13]
	v_add_f64 v[12:13], v[154:155], v[190:191]
	v_add_f64 v[2:3], v[38:39], v[178:179]
	;; [unrolled: 1-line block ×4, first 2 shown]
	v_fma_f64 v[6:7], v[42:43], s[4:5], v[28:29]
	v_fma_f64 v[10:11], v[42:43], s[6:7], v[28:29]
	v_add_f64 v[28:29], v[22:23], v[78:79]
	v_add_f64 v[34:35], v[56:57], v[99:100]
	v_add_f64 v[30:31], v[78:79], -v[95:96]
	v_add_f64 v[36:37], v[54:55], v[97:98]
	v_fma_f64 v[14:15], v[14:15], -0.5, v[22:23]
	v_add_f64 v[22:23], v[176:177], -v[180:181]
	v_fma_f64 v[24:25], v[16:17], -0.5, v[24:25]
	v_lshlrev_b32_sdwa v16, v106, v89 dst_sel:DWORD dst_unused:UNUSED_PAD src0_sel:DWORD src1_sel:WORD_0
	v_fma_f64 v[32:33], v[44:45], -0.5, v[54:55]
	v_add_f64 v[44:45], v[60:61], v[154:155]
	v_add_f64 v[38:39], v[99:100], -v[186:187]
	v_fma_f64 v[40:41], v[18:19], -0.5, v[56:57]
	v_add_f64 v[42:43], v[97:98], -v[184:185]
	v_add3_u32 v56, 0, v46, v16
	v_add_f64 v[46:47], v[58:59], v[152:153]
	v_fma_f64 v[48:49], v[20:21], -0.5, v[58:59]
	v_add_f64 v[50:51], v[154:155], -v[190:191]
	v_fma_f64 v[52:53], v[12:13], -0.5, v[60:61]
	v_add_f64 v[54:55], v[152:153], -v[188:189]
	ds_write_b128 v56, v[0:3]
	v_add_f64 v[2:3], v[26:27], v[180:181]
	v_mul_u32_u24_e32 v20, 0x90, v87
	v_add_f64 v[0:1], v[28:29], v[95:96]
	v_lshlrev_b32_sdwa v21, v106, v88 dst_sel:DWORD dst_unused:UNUSED_PAD src0_sel:DWORD src1_sel:WORD_0
	ds_write_b128 v56, v[4:7] offset:48
	ds_write_b128 v56, v[8:11] offset:96
	v_mov_b32_e32 v72, 9
	v_mov_b32_e32 v65, 0xe38f
	v_fma_f64 v[12:13], v[22:23], s[6:7], v[14:15]
	v_fma_f64 v[16:17], v[22:23], s[4:5], v[14:15]
	v_add_f64 v[22:23], v[34:35], v[186:187]
	v_fma_f64 v[14:15], v[30:31], s[4:5], v[24:25]
	v_add_f64 v[34:35], v[44:45], v[190:191]
	v_mul_lo_u16 v44, v80, 57
	v_fma_f64 v[18:19], v[30:31], s[6:7], v[24:25]
	v_add3_u32 v57, 0, v20, v21
	v_add_f64 v[20:21], v[36:37], v[184:185]
	v_fma_f64 v[24:25], v[38:39], s[6:7], v[32:33]
	v_fma_f64 v[26:27], v[42:43], s[4:5], v[40:41]
	;; [unrolled: 1-line block ×4, first 2 shown]
	v_add_f64 v[32:33], v[46:47], v[188:189]
	v_lshrrev_b16 v128, 9, v44
	v_fma_f64 v[36:37], v[50:51], s[6:7], v[48:49]
	v_fma_f64 v[38:39], v[54:55], s[4:5], v[52:53]
	;; [unrolled: 1-line block ×4, first 2 shown]
	v_mul_lo_u16 v4, v128, 9
	v_mul_u32_u24_e32 v44, 0x90, v81
	v_lshlrev_b32_sdwa v45, v106, v84 dst_sel:DWORD dst_unused:UNUSED_PAD src0_sel:DWORD src1_sel:WORD_0
	ds_write_b128 v57, v[0:3]
	v_mul_u32_u24_e32 v1, 0x90, v82
	v_lshlrev_b32_sdwa v2, v106, v83 dst_sel:DWORD dst_unused:UNUSED_PAD src0_sel:DWORD src1_sel:WORD_0
	v_sub_nc_u16 v129, v112, v4
	v_add3_u32 v0, 0, v44, v45
	ds_write_b128 v57, v[12:15] offset:48
	ds_write_b128 v57, v[16:19] offset:96
	v_mul_u32_u24_sdwa v65, v127, v65 dst_sel:DWORD dst_unused:UNUSED_PAD src0_sel:WORD_0 src1_sel:DWORD
	v_add3_u32 v1, 0, v1, v2
	v_mul_u32_u24_sdwa v2, v129, v72 dst_sel:DWORD dst_unused:UNUSED_PAD src0_sel:BYTE_0 src1_sel:DWORD
	ds_write_b128 v0, v[20:23]
	ds_write_b128 v0, v[24:27] offset:48
	ds_write_b128 v0, v[28:31] offset:96
	ds_write_b128 v1, v[32:35]
	ds_write_b128 v1, v[36:39] offset:48
	v_lshlrev_b32_e32 v32, 4, v2
	v_mul_lo_u16 v28, v107, 57
	v_lshrrev_b32_e32 v108, 19, v65
	ds_write_b128 v1, v[40:43] offset:96
	s_waitcnt lgkmcnt(0)
	s_barrier
	buffer_gl0_inv
	s_clause 0x6
	global_load_dwordx4 v[0:3], v32, s[12:13] offset:96
	global_load_dwordx4 v[16:19], v32, s[12:13] offset:112
	;; [unrolled: 1-line block ×7, first 2 shown]
	v_lshrrev_b16 v110, 9, v28
	s_clause 0x1
	global_load_dwordx4 v[28:31], v32, s[12:13] offset:208
	global_load_dwordx4 v[32:35], v32, s[12:13] offset:224
	v_mul_lo_u16 v73, v108, 9
	v_mul_lo_u16 v36, v110, 9
	v_sub_nc_u16 v109, v127, v73
	v_sub_nc_u16 v111, v116, v36
	v_mul_u32_u24_sdwa v36, v111, v72 dst_sel:DWORD dst_unused:UNUSED_PAD src0_sel:BYTE_0 src1_sel:DWORD
	v_mul_u32_u24_sdwa v72, v109, v72 dst_sel:DWORD dst_unused:UNUSED_PAD src0_sel:WORD_0 src1_sel:DWORD
	v_lshlrev_b32_e32 v64, 4, v36
	s_clause 0x8
	global_load_dwordx4 v[36:39], v64, s[12:13] offset:96
	global_load_dwordx4 v[40:43], v64, s[12:13] offset:112
	;; [unrolled: 1-line block ×9, first 2 shown]
	v_lshlrev_b32_e32 v144, 4, v72
	s_clause 0x2
	global_load_dwordx4 v[72:75], v144, s[12:13] offset:96
	global_load_dwordx4 v[80:83], v144, s[12:13] offset:112
	;; [unrolled: 1-line block ×3, first 2 shown]
	ds_read_b128 v[92:95], v137
	ds_read_b128 v[96:99], v86
	;; [unrolled: 1-line block ×3, first 2 shown]
	ds_read_b128 v[88:91], v130 offset:20736
	ds_read_b128 v[100:103], v138
	ds_read_b128 v[145:148], v130 offset:25920
	ds_read_b128 v[149:152], v130 offset:31104
	;; [unrolled: 1-line block ×5, first 2 shown]
	s_waitcnt vmcnt(20) lgkmcnt(9)
	v_mul_f64 v[165:166], v[94:95], v[2:3]
	s_waitcnt vmcnt(19) lgkmcnt(8)
	v_mul_f64 v[167:168], v[98:99], v[18:19]
	v_mul_f64 v[18:19], v[96:97], v[18:19]
	s_waitcnt vmcnt(18) lgkmcnt(7)
	v_mul_f64 v[169:170], v[86:87], v[6:7]
	v_mul_f64 v[2:3], v[92:93], v[2:3]
	;; [unrolled: 1-line block ×3, first 2 shown]
	s_waitcnt vmcnt(16) lgkmcnt(4)
	v_mul_f64 v[177:178], v[145:146], v[14:15]
	v_mul_f64 v[171:172], v[90:91], v[10:11]
	;; [unrolled: 1-line block ×3, first 2 shown]
	v_fma_f64 v[165:166], v[92:93], v[0:1], v[165:166]
	v_fma_f64 v[167:168], v[96:97], v[16:17], v[167:168]
	v_fma_f64 v[175:176], v[98:99], v[16:17], -v[18:19]
	v_mul_f64 v[18:19], v[147:148], v[14:15]
	v_fma_f64 v[169:170], v[84:85], v[4:5], v[169:170]
	s_waitcnt vmcnt(15) lgkmcnt(3)
	v_mul_f64 v[84:85], v[151:152], v[22:23]
	v_fma_f64 v[173:174], v[94:95], v[0:1], -v[2:3]
	ds_read_b128 v[0:3], v130 offset:38016
	ds_read_b128 v[92:95], v130 offset:24192
	v_fma_f64 v[179:180], v[86:87], v[4:5], -v[6:7]
	ds_read_b128 v[4:7], v130 offset:46656
	v_fma_f64 v[177:178], v[147:148], v[12:13], -v[177:178]
	v_mul_f64 v[22:23], v[149:150], v[22:23]
	v_fma_f64 v[171:172], v[88:89], v[8:9], v[171:172]
	v_fma_f64 v[181:182], v[90:91], v[8:9], -v[10:11]
	ds_read_b128 v[88:91], v130 offset:39744
	s_waitcnt vmcnt(14) lgkmcnt(5)
	v_mul_f64 v[86:87], v[159:160], v[26:27]
	v_mul_f64 v[26:27], v[157:158], v[26:27]
	ds_read_b128 v[14:17], v130 offset:48384
	ds_read_b128 v[8:11], v130 offset:6912
	ds_read_b128 v[96:99], v139
	v_fma_f64 v[183:184], v[145:146], v[12:13], v[18:19]
	s_waitcnt vmcnt(13) lgkmcnt(7)
	v_mul_f64 v[12:13], v[163:164], v[30:31]
	v_mul_f64 v[30:31], v[161:162], v[30:31]
	v_fma_f64 v[149:150], v[149:150], v[20:21], v[84:85]
	s_waitcnt vmcnt(12) lgkmcnt(4)
	v_mul_f64 v[84:85], v[6:7], v[34:35]
	v_mul_f64 v[34:35], v[4:5], v[34:35]
	v_fma_f64 v[151:152], v[151:152], v[20:21], -v[22:23]
	v_fma_f64 v[157:158], v[157:158], v[24:25], v[86:87]
	v_fma_f64 v[159:160], v[159:160], v[24:25], -v[26:27]
	ds_read_b128 v[18:21], v130 offset:12096
	ds_read_b128 v[22:25], v130 offset:8640
	v_fma_f64 v[161:162], v[161:162], v[28:29], v[12:13]
	s_waitcnt vmcnt(11) lgkmcnt(3)
	v_mul_f64 v[12:13], v[10:11], v[38:39]
	v_fma_f64 v[163:164], v[163:164], v[28:29], -v[30:31]
	ds_read_b128 v[26:29], v130 offset:13824
	v_mul_f64 v[30:31], v[8:9], v[38:39]
	v_fma_f64 v[185:186], v[4:5], v[32:33], v[84:85]
	v_fma_f64 v[187:188], v[6:7], v[32:33], -v[34:35]
	ds_read_b128 v[4:7], v130 offset:17280
	s_waitcnt vmcnt(10) lgkmcnt(3)
	v_mul_f64 v[34:35], v[20:21], v[42:43]
	v_mul_f64 v[38:39], v[18:19], v[42:43]
	v_fma_f64 v[189:190], v[8:9], v[36:37], v[12:13]
	v_fma_f64 v[191:192], v[10:11], v[36:37], -v[30:31]
	s_waitcnt vmcnt(9) lgkmcnt(0)
	v_mul_f64 v[12:13], v[6:7], v[46:47]
	ds_read_b128 v[30:33], v130 offset:19008
	ds_read_b128 v[8:11], v130 offset:27648
	v_mul_f64 v[36:37], v[4:5], v[46:47]
	v_fma_f64 v[84:85], v[18:19], v[40:41], v[34:35]
	v_fma_f64 v[86:87], v[20:21], v[40:41], -v[38:39]
	s_waitcnt vmcnt(8)
	v_mul_f64 v[18:19], v[155:156], v[50:51]
	v_mul_f64 v[20:21], v[153:154], v[50:51]
	v_fma_f64 v[193:194], v[4:5], v[44:45], v[12:13]
	s_waitcnt vmcnt(7) lgkmcnt(0)
	v_mul_f64 v[12:13], v[10:11], v[54:55]
	v_mul_f64 v[34:35], v[8:9], v[54:55]
	v_fma_f64 v[195:196], v[6:7], v[44:45], -v[36:37]
	ds_read_b128 v[36:39], v130 offset:29376
	ds_read_b128 v[4:7], v130 offset:32832
	;; [unrolled: 1-line block ×3, first 2 shown]
	v_fma_f64 v[153:154], v[153:154], v[48:49], v[18:19]
	v_fma_f64 v[155:156], v[155:156], v[48:49], -v[20:21]
	v_fma_f64 v[197:198], v[8:9], v[52:53], v[12:13]
	v_fma_f64 v[199:200], v[10:11], v[52:53], -v[34:35]
	s_waitcnt vmcnt(6) lgkmcnt(1)
	v_mul_f64 v[8:9], v[6:7], v[58:59]
	v_mul_f64 v[10:11], v[4:5], v[58:59]
	s_waitcnt vmcnt(5)
	v_mul_f64 v[12:13], v[2:3], v[70:71]
	v_mul_f64 v[34:35], v[0:1], v[70:71]
	ds_read_b128 v[18:21], v130 offset:43200
	ds_read_b128 v[52:55], v130 offset:44928
	v_fma_f64 v[50:51], v[4:5], v[56:57], v[8:9]
	v_fma_f64 v[48:49], v[6:7], v[56:57], -v[10:11]
	v_fma_f64 v[8:9], v[0:1], v[68:69], v[12:13]
	v_fma_f64 v[10:11], v[2:3], v[68:69], -v[34:35]
	s_waitcnt vmcnt(4) lgkmcnt(1)
	v_mul_f64 v[0:1], v[20:21], v[62:63]
	v_mul_f64 v[2:3], v[18:19], v[62:63]
	global_load_dwordx4 v[56:59], v144, s[12:13] offset:144
	s_waitcnt vmcnt(4)
	v_mul_f64 v[12:13], v[14:15], v[66:67]
	global_load_dwordx4 v[68:71], v144, s[12:13] offset:224
	v_add_f64 v[201:202], v[155:156], v[48:49]
	v_fma_f64 v[6:7], v[18:19], v[60:61], v[0:1]
	v_fma_f64 v[0:1], v[20:21], v[60:61], -v[2:3]
	global_load_dwordx4 v[60:63], v144, s[12:13] offset:160
	v_mul_f64 v[2:3], v[16:17], v[66:67]
	s_waitcnt vmcnt(5)
	v_mul_f64 v[18:19], v[22:23], v[74:75]
	s_waitcnt vmcnt(4)
	v_mul_f64 v[20:21], v[28:29], v[82:83]
	v_fma_f64 v[201:202], v[201:202], -0.5, v[98:99]
	v_add_f64 v[203:204], v[86:87], v[0:1]
	v_fma_f64 v[4:5], v[14:15], v[64:65], v[2:3]
	v_fma_f64 v[2:3], v[16:17], v[64:65], -v[12:13]
	v_mul_f64 v[16:17], v[24:25], v[74:75]
	global_load_dwordx4 v[12:15], v144, s[12:13] offset:176
	v_fma_f64 v[46:47], v[24:25], v[72:73], -v[18:19]
	global_load_dwordx4 v[64:67], v144, s[12:13] offset:208
	v_mul_f64 v[24:25], v[26:27], v[82:83]
	v_add_f64 v[82:83], v[167:168], -v[161:162]
	v_fma_f64 v[203:204], v[203:204], -0.5, v[98:99]
	v_add_f64 v[98:99], v[98:99], v[86:87]
	v_fma_f64 v[40:41], v[22:23], v[72:73], v[16:17]
	global_load_dwordx4 v[16:19], v144, s[12:13] offset:192
	v_fma_f64 v[22:23], v[26:27], v[80:81], v[20:21]
	s_waitcnt vmcnt(6)
	v_mul_f64 v[26:27], v[30:31], v[78:79]
	v_fma_f64 v[20:21], v[28:29], v[80:81], -v[24:25]
	v_mul_f64 v[24:25], v[32:33], v[78:79]
	v_add_f64 v[98:99], v[98:99], v[155:156]
	v_fma_f64 v[44:45], v[32:33], v[76:77], -v[26:27]
	v_fma_f64 v[34:35], v[30:31], v[76:77], v[24:25]
	v_add_f64 v[98:99], v[98:99], v[48:49]
	s_waitcnt vmcnt(5)
	v_mul_f64 v[24:25], v[94:95], v[58:59]
	v_mul_f64 v[28:29], v[92:93], v[58:59]
	v_fma_f64 v[26:27], v[92:93], v[56:57], v[24:25]
	v_fma_f64 v[24:25], v[94:95], v[56:57], -v[28:29]
	s_waitcnt vmcnt(3)
	v_mul_f64 v[28:29], v[36:37], v[62:63]
	v_mul_f64 v[30:31], v[38:39], v[62:63]
	ds_read_b128 v[56:59], v130
	v_add_f64 v[62:63], v[173:174], v[179:180]
	v_add_f64 v[92:93], v[151:152], -v[163:164]
	v_add_f64 v[94:95], v[175:176], -v[163:164]
	v_fma_f64 v[42:43], v[38:39], v[60:61], -v[28:29]
	v_fma_f64 v[36:37], v[36:37], v[60:61], v[30:31]
	s_waitcnt vmcnt(2)
	v_mul_f64 v[32:33], v[147:148], v[14:15]
	v_mul_f64 v[14:15], v[145:146], v[14:15]
	v_add_f64 v[60:61], v[165:166], v[169:170]
	s_waitcnt vmcnt(1) lgkmcnt(1)
	v_mul_f64 v[72:73], v[54:55], v[66:67]
	v_mul_f64 v[66:67], v[52:53], v[66:67]
	v_add_f64 v[62:63], v[62:63], v[177:178]
	s_waitcnt vmcnt(0)
	v_mul_f64 v[38:39], v[90:91], v[18:19]
	v_mul_f64 v[18:19], v[88:89], v[18:19]
	v_fma_f64 v[30:31], v[145:146], v[12:13], v[32:33]
	v_fma_f64 v[28:29], v[147:148], v[12:13], -v[14:15]
	v_add_f64 v[60:61], v[60:61], v[183:184]
	v_add_f64 v[62:63], v[62:63], v[159:160]
	v_add_f64 v[144:145], v[169:170], -v[183:184]
	v_add_f64 v[146:147], v[183:184], -v[169:170]
	v_fma_f64 v[38:39], v[88:89], v[16:17], v[38:39]
	v_fma_f64 v[32:33], v[90:91], v[16:17], -v[18:19]
	ds_read_b128 v[16:19], v130 offset:50112
	s_waitcnt lgkmcnt(1)
	v_add_f64 v[12:13], v[56:57], v[167:168]
	v_add_f64 v[14:15], v[58:59], v[175:176]
	;; [unrolled: 1-line block ×4, first 2 shown]
	v_add_f64 v[88:89], v[181:182], -v[175:176]
	v_add_f64 v[90:91], v[181:182], -v[151:152]
	s_waitcnt lgkmcnt(0)
	s_barrier
	buffer_gl0_inv
	v_mul_f64 v[78:79], v[18:19], v[70:71]
	v_add_f64 v[74:75], v[12:13], v[171:172]
	v_add_f64 v[76:77], v[14:15], v[181:182]
	v_fma_f64 v[12:13], v[52:53], v[64:65], v[72:73]
	v_fma_f64 v[14:15], v[54:55], v[64:65], -v[66:67]
	v_mul_f64 v[52:53], v[16:17], v[70:71]
	v_add_f64 v[66:67], v[167:168], v[161:162]
	v_add_f64 v[70:71], v[175:176], v[163:164]
	;; [unrolled: 1-line block ×3, first 2 shown]
	v_fma_f64 v[16:17], v[16:17], v[68:69], v[78:79]
	v_add_f64 v[78:79], v[175:176], -v[181:182]
	v_add_f64 v[175:176], v[177:178], v[159:160]
	v_add_f64 v[54:55], v[74:75], v[149:150]
	;; [unrolled: 1-line block ×3, first 2 shown]
	v_add_f64 v[74:75], v[167:168], -v[171:172]
	v_add_f64 v[76:77], v[161:162], -v[149:150]
	v_fma_f64 v[18:19], v[18:19], v[68:69], -v[52:53]
	v_add_f64 v[52:53], v[171:172], v[149:150]
	v_add_f64 v[68:69], v[181:182], v[151:152]
	v_fma_f64 v[66:67], v[66:67], -0.5, v[56:57]
	v_fma_f64 v[70:71], v[70:71], -0.5, v[58:59]
	v_add_f64 v[181:182], v[187:188], -v[159:160]
	v_add_f64 v[72:73], v[54:55], v[161:162]
	v_add_f64 v[64:65], v[64:65], v[163:164]
	;; [unrolled: 1-line block ×3, first 2 shown]
	v_fma_f64 v[80:81], v[52:53], -0.5, v[56:57]
	v_fma_f64 v[68:69], v[68:69], -0.5, v[58:59]
	v_add_f64 v[52:53], v[72:73], v[60:61]
	v_add_f64 v[54:55], v[64:65], v[62:63]
	v_add_f64 v[56:57], v[72:73], -v[60:61]
	v_add_f64 v[58:59], v[64:65], -v[62:63]
	v_add_f64 v[60:61], v[163:164], -v[151:152]
	v_add_f64 v[62:63], v[171:172], -v[167:168]
	v_add_f64 v[64:65], v[171:172], -v[149:150]
	v_add_f64 v[72:73], v[149:150], -v[161:162]
	v_add_f64 v[148:149], v[183:184], v[157:158]
	v_add_f64 v[150:151], v[183:184], -v[157:158]
	v_add_f64 v[161:162], v[185:186], -v[157:158]
	;; [unrolled: 1-line block ×3, first 2 shown]
	v_add_f64 v[163:164], v[169:170], v[185:186]
	v_add_f64 v[167:168], v[169:170], -v[185:186]
	v_add_f64 v[169:170], v[179:180], -v[177:178]
	;; [unrolled: 1-line block ×5, first 2 shown]
	v_add_f64 v[183:184], v[179:180], v[187:188]
	v_add_f64 v[179:180], v[179:180], -v[187:188]
	v_add_f64 v[185:186], v[153:154], v[50:51]
	v_add_f64 v[187:188], v[84:85], v[6:7]
	;; [unrolled: 1-line block ×7, first 2 shown]
	v_fma_f64 v[144:145], v[148:149], -0.5, v[165:166]
	v_fma_f64 v[148:149], v[175:176], -0.5, v[173:174]
	v_fma_f64 v[161:162], v[94:95], s[16:17], v[80:81]
	v_fma_f64 v[80:81], v[94:95], s[0:1], v[80:81]
	v_fma_f64 v[146:147], v[163:164], -0.5, v[165:166]
	v_add_f64 v[92:93], v[171:172], v[159:160]
	v_fma_f64 v[157:158], v[183:184], -0.5, v[173:174]
	v_fma_f64 v[159:160], v[90:91], s[0:1], v[66:67]
	v_fma_f64 v[66:67], v[90:91], s[16:17], v[66:67]
	v_add_f64 v[78:79], v[169:170], v[181:182]
	v_fma_f64 v[169:170], v[82:83], s[0:1], v[68:69]
	v_fma_f64 v[68:69], v[82:83], s[16:17], v[68:69]
	v_mov_b32_e32 v175, 0x5a0
	v_add_f64 v[173:174], v[195:196], -v[2:3]
	v_fma_f64 v[185:186], v[185:186], -0.5, v[96:97]
	v_fma_f64 v[187:188], v[187:188], -0.5, v[96:97]
	v_add_f64 v[96:97], v[96:97], v[84:85]
	v_add_f64 v[171:172], v[189:190], v[193:194]
	v_fma_f64 v[163:164], v[167:168], s[0:1], v[148:149]
	v_fma_f64 v[148:149], v[167:168], s[16:17], v[148:149]
	v_fma_f64 v[80:81], v[90:91], s[8:9], v[80:81]
	v_fma_f64 v[165:166], v[177:178], s[0:1], v[146:147]
	v_fma_f64 v[146:147], v[177:178], s[16:17], v[146:147]
	v_fma_f64 v[159:160], v[94:95], s[14:15], v[159:160]
	v_fma_f64 v[66:67], v[94:95], s[8:9], v[66:67]
	v_fma_f64 v[94:95], v[150:151], s[16:17], v[157:158]
	v_fma_f64 v[157:158], v[150:151], s[0:1], v[157:158]
	v_add_f64 v[96:97], v[96:97], v[153:154]
	v_fma_f64 v[163:164], v[150:151], s[8:9], v[163:164]
	v_fma_f64 v[148:149], v[150:151], s[14:15], v[148:149]
	v_fma_f64 v[80:81], v[74:75], s[18:19], v[80:81]
	v_fma_f64 v[165:166], v[179:180], s[14:15], v[165:166]
	v_fma_f64 v[146:147], v[179:180], s[8:9], v[146:147]
	v_fma_f64 v[94:95], v[167:168], s[8:9], v[94:95]
	v_fma_f64 v[157:158], v[167:168], s[14:15], v[157:158]
	v_fma_f64 v[167:168], v[179:180], s[16:17], v[144:145]
	v_fma_f64 v[144:145], v[179:180], s[0:1], v[144:145]
	;; [unrolled: 10-line block ×3, first 2 shown]
	v_fma_f64 v[68:69], v[92:93], s[18:19], v[94:95]
	v_mul_u32_u24_sdwa v94, v128, v175 dst_sel:DWORD dst_unused:UNUSED_PAD src0_sel:WORD_0 src1_sel:DWORD
	v_lshlrev_b32_sdwa v95, v106, v129 dst_sel:DWORD dst_unused:UNUSED_PAD src0_sel:DWORD src1_sel:BYTE_0
	v_fma_f64 v[92:93], v[92:93], s[18:19], v[157:158]
	v_fma_f64 v[128:129], v[76:77], s[18:19], v[150:151]
	;; [unrolled: 1-line block ×4, first 2 shown]
	v_add3_u32 v176, 0, v94, v95
	v_fma_f64 v[94:95], v[78:79], s[18:19], v[163:164]
	v_fma_f64 v[78:79], v[78:79], s[18:19], v[148:149]
	;; [unrolled: 1-line block ×5, first 2 shown]
	v_add_f64 v[66:67], v[195:196], v[2:3]
	v_add_f64 v[163:164], v[197:198], v[8:9]
	ds_write_b128 v176, v[52:55]
	ds_write_b128 v176, v[56:59] offset:720
	v_fma_f64 v[159:160], v[72:73], s[18:19], v[167:168]
	v_fma_f64 v[165:166], v[72:73], s[18:19], v[70:71]
	;; [unrolled: 1-line block ×4, first 2 shown]
	v_add_f64 v[167:168], v[193:194], -v[4:5]
	v_mul_f64 v[146:147], v[68:69], s[16:17]
	v_mul_f64 v[68:69], v[68:69], s[18:19]
	;; [unrolled: 1-line block ×6, first 2 shown]
	v_fma_f64 v[146:147], v[150:151], s[18:19], v[146:147]
	v_fma_f64 v[68:69], v[150:151], s[0:1], v[68:69]
	v_add_f64 v[150:151], v[199:200], v[10:11]
	v_fma_f64 v[72:73], v[88:89], s[22:23], v[144:145]
	v_fma_f64 v[74:75], v[88:89], s[0:1], v[92:93]
	;; [unrolled: 1-line block ×3, first 2 shown]
	v_add_f64 v[88:89], v[197:198], -v[8:9]
	v_add_f64 v[144:145], v[193:194], v[4:5]
	v_fma_f64 v[148:149], v[128:129], s[24:25], v[148:149]
	v_fma_f64 v[94:95], v[128:129], s[8:9], v[94:95]
	v_mul_f64 v[128:129], v[78:79], s[14:15]
	v_mul_f64 v[78:79], v[78:79], s[20:21]
	v_add_f64 v[60:61], v[157:158], v[146:147]
	v_add_f64 v[62:63], v[159:160], v[68:69]
	v_fma_f64 v[150:151], v[150:151], -0.5, v[191:192]
	v_add_f64 v[64:65], v[157:158], -v[146:147]
	v_add_f64 v[70:71], v[165:166], v[74:75]
	v_add_f64 v[146:147], v[2:3], -v[10:11]
	v_add_f64 v[157:158], v[10:11], -v[2:3]
	v_fma_f64 v[144:145], v[144:145], -0.5, v[189:190]
	v_add_f64 v[52:53], v[82:83], v[148:149]
	v_add_f64 v[54:55], v[90:91], v[94:95]
	v_fma_f64 v[128:129], v[76:77], s[20:21], v[128:129]
	v_fma_f64 v[169:170], v[76:77], s[8:9], v[78:79]
	v_add_f64 v[56:57], v[82:83], -v[148:149]
	v_fma_f64 v[148:149], v[66:67], -0.5, v[191:192]
	v_add_f64 v[66:67], v[159:160], -v[68:69]
	v_add_f64 v[68:69], v[161:162], v[72:73]
	v_add_f64 v[58:59], v[90:91], -v[94:95]
	v_add_f64 v[94:95], v[193:194], -v[197:198]
	v_add_f64 v[90:91], v[191:192], v[195:196]
	v_add_f64 v[72:73], v[161:162], -v[72:73]
	v_add_f64 v[74:75], v[165:166], -v[74:75]
	;; [unrolled: 1-line block ×4, first 2 shown]
	ds_write_b128 v176, v[60:63] offset:288
	v_add_f64 v[60:61], v[199:200], -v[10:11]
	v_add_f64 v[62:63], v[199:200], -v[195:196]
	ds_write_b128 v176, v[52:55] offset:144
	v_add_f64 v[76:77], v[80:81], v[128:129]
	v_add_f64 v[78:79], v[92:93], v[169:170]
	v_add_f64 v[80:81], v[80:81], -v[128:129]
	v_add_f64 v[82:83], v[92:93], -v[169:170]
	;; [unrolled: 1-line block ×3, first 2 shown]
	v_fma_f64 v[128:129], v[163:164], -0.5, v[189:190]
	v_fma_f64 v[54:55], v[167:168], s[0:1], v[150:151]
	v_add_f64 v[52:53], v[4:5], -v[8:9]
	v_fma_f64 v[159:160], v[88:89], s[16:17], v[148:149]
	v_fma_f64 v[148:149], v[88:89], s[0:1], v[148:149]
	ds_write_b128 v176, v[68:71] offset:432
	v_add_f64 v[169:170], v[84:85], -v[153:154]
	v_add_f64 v[70:71], v[86:87], -v[155:156]
	v_add_f64 v[163:164], v[171:172], v[197:198]
	v_add_f64 v[90:91], v[90:91], v[199:200]
	;; [unrolled: 1-line block ×3, first 2 shown]
	v_fma_f64 v[157:158], v[60:61], s[0:1], v[144:145]
	v_add_f64 v[161:162], v[161:162], v[165:166]
	v_add_f64 v[165:166], v[6:7], -v[50:51]
	v_fma_f64 v[150:151], v[167:168], s[16:17], v[150:151]
	v_fma_f64 v[144:145], v[60:61], s[16:17], v[144:145]
	ds_write_b128 v176, v[56:59] offset:864
	ds_write_b128 v176, v[64:67] offset:1008
	;; [unrolled: 1-line block ×5, first 2 shown]
	v_add_f64 v[92:93], v[92:93], v[146:147]
	v_fma_f64 v[68:69], v[173:174], s[16:17], v[128:129]
	v_fma_f64 v[54:55], v[88:89], s[8:9], v[54:55]
	v_add_f64 v[146:147], v[86:87], -v[0:1]
	v_add_f64 v[52:53], v[94:95], v[52:53]
	v_add_f64 v[94:95], v[84:85], -v[6:7]
	v_fma_f64 v[159:160], v[167:168], s[8:9], v[159:160]
	v_add_f64 v[86:87], v[155:156], -v[86:87]
	v_add_f64 v[155:156], v[155:156], -v[48:49]
	;; [unrolled: 1-line block ×4, first 2 shown]
	v_fma_f64 v[148:149], v[167:168], s[14:15], v[148:149]
	v_add_f64 v[167:168], v[0:1], -v[48:49]
	v_add_f64 v[50:51], v[50:51], -v[6:7]
	;; [unrolled: 1-line block ×3, first 2 shown]
	v_fma_f64 v[157:158], v[173:174], s[14:15], v[157:158]
	v_add_f64 v[8:9], v[163:164], v[8:9]
	v_add_f64 v[10:11], v[90:91], v[10:11]
	v_fma_f64 v[64:65], v[173:174], s[0:1], v[128:129]
	v_fma_f64 v[66:67], v[88:89], s[14:15], v[150:151]
	v_add_f64 v[88:89], v[169:170], v[165:166]
	v_fma_f64 v[144:145], v[173:174], s[8:9], v[144:145]
	v_add_f64 v[6:7], v[96:97], v[6:7]
	v_fma_f64 v[68:69], v[60:61], s[14:15], v[68:69]
	v_fma_f64 v[54:55], v[92:93], s[18:19], v[54:55]
	;; [unrolled: 1-line block ×6, first 2 shown]
	v_add_f64 v[0:1], v[98:99], v[0:1]
	v_fma_f64 v[56:57], v[155:156], s[0:1], v[187:188]
	v_fma_f64 v[90:91], v[155:156], s[16:17], v[187:188]
	;; [unrolled: 1-line block ×5, first 2 shown]
	v_add_f64 v[70:71], v[70:71], v[167:168]
	v_add_f64 v[50:51], v[84:85], v[50:51]
	;; [unrolled: 1-line block ×3, first 2 shown]
	v_fma_f64 v[48:49], v[161:162], s[18:19], v[157:158]
	v_add_f64 v[4:5], v[8:9], v[4:5]
	v_fma_f64 v[60:61], v[60:61], s[8:9], v[64:65]
	v_fma_f64 v[64:65], v[92:93], s[18:19], v[66:67]
	;; [unrolled: 1-line block ×4, first 2 shown]
	v_add_f64 v[2:3], v[10:11], v[2:3]
	v_fma_f64 v[68:69], v[52:53], s[18:19], v[68:69]
	v_mul_f64 v[148:149], v[54:55], s[14:15]
	v_fma_f64 v[76:77], v[155:156], s[14:15], v[76:77]
	v_mul_f64 v[54:55], v[54:55], s[24:25]
	;; [unrolled: 2-line block ×3, first 2 shown]
	v_mul_f64 v[150:151], v[159:160], s[18:19]
	v_fma_f64 v[56:57], v[146:147], s[14:15], v[56:57]
	v_fma_f64 v[8:9], v[146:147], s[8:9], v[90:91]
	;; [unrolled: 1-line block ×4, first 2 shown]
	v_mul_f64 v[94:95], v[62:63], s[16:17]
	v_mul_f64 v[62:63], v[62:63], s[22:23]
	v_fma_f64 v[80:81], v[155:156], s[8:9], v[96:97]
	v_add_f64 v[128:129], v[42:43], v[32:33]
	v_add_f64 v[144:145], v[20:21], v[14:15]
	v_mul_u32_u24_sdwa v168, v110, v175 dst_sel:DWORD dst_unused:UNUSED_PAD src0_sel:WORD_0 src1_sel:DWORD
	v_fma_f64 v[82:83], v[52:53], s[18:19], v[60:61]
	v_mul_f64 v[96:97], v[64:65], s[14:15]
	v_fma_f64 v[66:67], v[152:153], s[14:15], v[66:67]
	v_mul_f64 v[64:65], v[64:65], s[20:21]
	v_add_f64 v[52:53], v[6:7], -v[4:5]
	v_add_f64 v[152:153], v[18:19], -v[32:33]
	v_fma_f64 v[10:11], v[68:69], s[24:25], v[148:149]
	v_fma_f64 v[76:77], v[88:89], s[18:19], v[76:77]
	;; [unrolled: 1-line block ×12, first 2 shown]
	v_add_f64 v[50:51], v[0:1], v[2:3]
	v_add_f64 v[54:55], v[0:1], -v[2:3]
	v_add_f64 v[48:49], v[6:7], v[4:5]
	v_add_f64 v[148:149], v[44:45], -v[42:43]
	v_add_f64 v[150:151], v[44:45], -v[18:19]
	v_add_f64 v[94:95], v[102:103], v[20:21]
	v_lshlrev_b32_sdwa v169, v106, v111 dst_sel:DWORD dst_unused:UNUSED_PAD src0_sel:DWORD src1_sel:BYTE_0
	v_add_f64 v[110:111], v[42:43], -v[32:33]
	v_add_f64 v[156:157], v[32:33], -v[18:19]
	;; [unrolled: 1-line block ×4, first 2 shown]
	v_add_f64 v[56:57], v[76:77], v[10:11]
	v_add_f64 v[0:1], v[76:77], -v[10:11]
	v_add_f64 v[76:77], v[44:45], v[18:19]
	v_add_f64 v[58:59], v[78:79], v[68:69]
	v_add_f64 v[2:3], v[78:79], -v[68:69]
	v_add_f64 v[60:61], v[86:87], v[72:73]
	v_add_f64 v[4:5], v[86:87], -v[72:73]
	v_add_f64 v[62:63], v[98:99], v[74:75]
	v_fma_f64 v[72:73], v[88:89], s[18:19], v[80:81]
	v_add_f64 v[68:69], v[100:101], v[22:23]
	v_add_f64 v[6:7], v[98:99], -v[74:75]
	v_add_f64 v[74:75], v[36:37], v[38:39]
	v_fma_f64 v[86:87], v[128:129], -0.5, v[46:47]
	v_add_f64 v[88:89], v[34:35], -v[16:17]
	v_fma_f64 v[78:79], v[82:83], s[20:21], v[96:97]
	v_fma_f64 v[80:81], v[70:71], s[18:19], v[66:67]
	v_fma_f64 v[82:83], v[82:83], s[8:9], v[64:65]
	v_add_f64 v[64:65], v[8:9], v[90:91]
	v_add_f64 v[66:67], v[84:85], v[92:93]
	v_add_f64 v[96:97], v[40:41], v[34:35]
	v_add_f64 v[8:9], v[8:9], -v[90:91]
	v_add_f64 v[10:11], v[84:85], -v[92:93]
	;; [unrolled: 1-line block ×3, first 2 shown]
	v_add_f64 v[90:91], v[34:35], v[16:17]
	v_fma_f64 v[76:77], v[76:77], -0.5, v[46:47]
	v_add_f64 v[92:93], v[26:27], v[30:31]
	v_add_f64 v[98:99], v[22:23], v[12:13]
	;; [unrolled: 1-line block ×4, first 2 shown]
	v_add_f64 v[44:45], v[42:43], -v[44:45]
	v_add_f64 v[148:149], v[148:149], v[152:153]
	v_add_f64 v[146:147], v[68:69], v[26:27]
	;; [unrolled: 1-line block ×3, first 2 shown]
	v_fma_f64 v[74:75], v[74:75], -0.5, v[40:41]
	v_add_f64 v[162:163], v[26:27], -v[30:31]
	v_fma_f64 v[154:155], v[88:89], s[0:1], v[86:87]
	v_fma_f64 v[86:87], v[88:89], s[16:17], v[86:87]
	v_add_f64 v[164:165], v[12:13], -v[30:31]
	v_add_f64 v[166:167], v[20:21], -v[24:25]
	v_add_f64 v[68:69], v[72:73], v[78:79]
	v_add_f64 v[70:71], v[80:81], v[82:83]
	;; [unrolled: 1-line block ×3, first 2 shown]
	v_fma_f64 v[40:41], v[90:91], -0.5, v[40:41]
	v_fma_f64 v[90:91], v[84:85], s[16:17], v[76:77]
	v_fma_f64 v[76:77], v[84:85], s[0:1], v[76:77]
	v_fma_f64 v[92:93], v[92:93], -0.5, v[100:101]
	v_fma_f64 v[98:99], v[98:99], -0.5, v[100:101]
	;; [unrolled: 1-line block ×4, first 2 shown]
	v_add_f64 v[42:43], v[46:47], v[42:43]
	v_add_f64 v[46:47], v[146:147], v[30:31]
	v_add_f64 v[128:129], v[34:35], -v[36:37]
	v_add_f64 v[144:145], v[16:17], -v[38:39]
	v_fma_f64 v[146:147], v[150:151], s[16:17], v[74:75]
	v_fma_f64 v[152:153], v[84:85], s[8:9], v[154:155]
	v_add_f64 v[154:155], v[20:21], -v[14:15]
	v_add_f64 v[34:35], v[36:37], -v[34:35]
	;; [unrolled: 1-line block ×3, first 2 shown]
	v_fma_f64 v[74:75], v[150:151], s[0:1], v[74:75]
	v_fma_f64 v[84:85], v[84:85], s[14:15], v[86:87]
	v_add_f64 v[96:97], v[96:97], v[38:39]
	v_add_f64 v[38:39], v[44:45], v[156:157]
	v_add_f64 v[156:157], v[22:23], -v[26:27]
	v_add_f64 v[94:95], v[94:95], v[28:29]
	v_fma_f64 v[44:45], v[110:111], s[0:1], v[40:41]
	v_fma_f64 v[90:91], v[88:89], s[8:9], v[90:91]
	;; [unrolled: 1-line block ×4, first 2 shown]
	v_add_f64 v[88:89], v[14:15], -v[28:29]
	v_add_f64 v[22:23], v[26:27], -v[22:23]
	;; [unrolled: 1-line block ×5, first 2 shown]
	v_add_f64 v[32:33], v[42:43], v[32:33]
	v_add_f64 v[128:129], v[128:129], v[144:145]
	v_fma_f64 v[144:145], v[110:111], s[14:15], v[146:147]
	v_fma_f64 v[86:87], v[148:149], s[18:19], v[152:153]
	v_fma_f64 v[146:147], v[154:155], s[16:17], v[92:93]
	v_fma_f64 v[152:153], v[158:159], s[0:1], v[100:101]
	v_add_f64 v[28:29], v[34:35], v[36:37]
	v_fma_f64 v[36:37], v[160:161], s[0:1], v[98:99]
	v_fma_f64 v[42:43], v[162:163], s[16:17], v[102:103]
	;; [unrolled: 1-line block ×5, first 2 shown]
	v_add_f64 v[46:47], v[46:47], v[12:13]
	v_fma_f64 v[30:31], v[150:151], s[14:15], v[44:45]
	v_fma_f64 v[34:35], v[38:39], s[18:19], v[90:91]
	;; [unrolled: 1-line block ×7, first 2 shown]
	v_add_f64 v[76:77], v[156:157], v[164:165]
	v_add_f64 v[88:89], v[166:167], v[88:89]
	;; [unrolled: 1-line block ×4, first 2 shown]
	v_fma_f64 v[100:101], v[128:129], s[18:19], v[144:145]
	v_mul_f64 v[102:103], v[86:87], s[14:15]
	v_mul_f64 v[86:87], v[86:87], s[24:25]
	v_fma_f64 v[110:111], v[160:161], s[14:15], v[146:147]
	v_fma_f64 v[144:145], v[162:163], s[8:9], v[152:153]
	;; [unrolled: 1-line block ×6, first 2 shown]
	v_mul_f64 v[128:129], v[84:85], s[14:15]
	v_mul_f64 v[84:85], v[84:85], s[20:21]
	v_fma_f64 v[26:27], v[28:29], s[18:19], v[30:31]
	v_mul_f64 v[30:31], v[34:35], s[16:17]
	v_mul_f64 v[34:35], v[34:35], s[18:19]
	v_fma_f64 v[44:45], v[154:155], s[8:9], v[44:45]
	v_fma_f64 v[90:91], v[158:159], s[14:15], v[90:91]
	;; [unrolled: 1-line block ×3, first 2 shown]
	v_mul_f64 v[40:41], v[38:39], s[16:17]
	v_mul_f64 v[38:39], v[38:39], s[22:23]
	v_fma_f64 v[98:99], v[162:163], s[14:15], v[98:99]
	v_add_f64 v[20:21], v[72:73], -v[78:79]
	v_add_f64 v[72:73], v[94:95], v[14:15]
	v_add_f64 v[16:17], v[96:97], v[16:17]
	;; [unrolled: 1-line block ×3, first 2 shown]
	v_fma_f64 v[32:33], v[100:101], s[24:25], v[102:103]
	v_fma_f64 v[78:79], v[100:101], s[8:9], v[86:87]
	;; [unrolled: 1-line block ×9, first 2 shown]
	v_add3_u32 v148, 0, v168, v169
	v_fma_f64 v[96:97], v[26:27], s[18:19], v[30:31]
	v_fma_f64 v[100:101], v[26:27], s[0:1], v[34:35]
	;; [unrolled: 1-line block ×4, first 2 shown]
	v_add_f64 v[22:23], v[80:81], -v[82:83]
	v_fma_f64 v[144:145], v[28:29], s[22:23], v[40:41]
	v_fma_f64 v[146:147], v[28:29], s[0:1], v[38:39]
	;; [unrolled: 1-line block ×3, first 2 shown]
	ds_write_b128 v148, v[48:51]
	ds_write_b128 v148, v[56:59] offset:144
	ds_write_b128 v148, v[60:63] offset:288
	;; [unrolled: 1-line block ×5, first 2 shown]
	v_add_nc_u32_e32 v54, 0xffffffa6, v112
	v_add_f64 v[12:13], v[46:47], v[16:17]
	v_add_f64 v[14:15], v[72:73], v[18:19]
	v_add_f64 v[16:17], v[46:47], -v[16:17]
	v_add_f64 v[18:19], v[72:73], -v[18:19]
	v_add_f64 v[24:25], v[86:87], v[32:33]
	v_add_f64 v[26:27], v[94:95], v[78:79]
	v_add_f64 v[28:29], v[86:87], -v[32:33]
	v_add_f64 v[30:31], v[94:95], -v[78:79]
	v_cmp_gt_u32_e64 s0, 0x5a, v112
	v_add_f64 v[44:45], v[76:77], v[92:93]
	ds_write_b128 v148, v[0:3] offset:864
	v_add_f64 v[0:1], v[76:77], -v[92:93]
	v_add_f64 v[32:33], v[36:37], v[96:97]
	v_add_f64 v[34:35], v[102:103], v[100:101]
	v_add_f64 v[36:37], v[36:37], -v[96:97]
	v_add_f64 v[38:39], v[102:103], -v[100:101]
	v_cndmask_b32_e64 v100, v54, v112, s0
	v_add_f64 v[40:41], v[110:111], v[144:145]
	v_add_f64 v[42:43], v[90:91], v[146:147]
	;; [unrolled: 1-line block ×3, first 2 shown]
	v_add_f64 v[48:49], v[110:111], -v[144:145]
	v_add_f64 v[50:51], v[90:91], -v[146:147]
	;; [unrolled: 1-line block ×3, first 2 shown]
	v_mul_u32_u24_e32 v52, 0x5a0, v108
	v_lshlrev_b32_sdwa v53, v106, v109 dst_sel:DWORD dst_unused:UNUSED_PAD src0_sel:DWORD src1_sel:WORD_0
	v_mul_i32_i24_e32 v128, 5, v100
	v_mov_b32_e32 v129, 0
	v_mov_b32_e32 v72, 0x2d83
	v_lshlrev_b32_e32 v100, 4, v100
	v_add3_u32 v52, 0, v52, v53
	ds_write_b128 v148, v[4:7] offset:1008
	ds_write_b128 v148, v[8:11] offset:1152
	;; [unrolled: 1-line block ×3, first 2 shown]
	ds_write_b128 v52, v[12:15]
	v_lshlrev_b64 v[4:5], 4, v[128:129]
	ds_write_b128 v52, v[24:27] offset:144
	ds_write_b128 v52, v[32:35] offset:288
	;; [unrolled: 1-line block ×8, first 2 shown]
	v_add_co_u32 v16, s0, s12, v4
	v_add_co_ci_u32_e64 v17, s0, s13, v5, s0
	ds_write_b128 v52, v[0:3] offset:1296
	s_waitcnt lgkmcnt(0)
	s_barrier
	buffer_gl0_inv
	s_clause 0x2
	global_load_dwordx4 v[0:3], v[16:17], off offset:1392
	global_load_dwordx4 v[4:7], v[16:17], off offset:1408
	;; [unrolled: 1-line block ×3, first 2 shown]
	v_mul_lo_u16 v8, 0xb7, v107
	v_mul_u32_u24_sdwa v33, v127, v72 dst_sel:DWORD dst_unused:UNUSED_PAD src0_sel:WORD_0 src1_sel:DWORD
	v_mul_u32_u24_sdwa v57, v126, v72 dst_sel:DWORD dst_unused:UNUSED_PAD src0_sel:WORD_0 src1_sel:DWORD
	;; [unrolled: 1-line block ×3, first 2 shown]
	v_cmp_lt_u32_e64 s0, 0x59, v112
	v_lshrrev_b16 v101, 14, v8
	global_load_dwordx4 v[8:11], v[16:17], off offset:1440
	v_lshrrev_b32_e32 v98, 20, v33
	v_lshrrev_b32_e32 v96, 20, v57
	;; [unrolled: 1-line block ×3, first 2 shown]
	v_mul_lo_u16 v18, 0x5a, v101
	v_mul_i32_i24_e32 v128, 5, v116
	v_mul_lo_u16 v40, 0x5a, v98
	v_mul_lo_u16 v60, 0x5a, v96
	;; [unrolled: 1-line block ×3, first 2 shown]
	v_sub_nc_u16 v102, v116, v18
	global_load_dwordx4 v[16:19], v[16:17], off offset:1456
	v_sub_nc_u16 v99, v127, v40
	v_sub_nc_u16 v97, v126, v60
	;; [unrolled: 1-line block ×3, first 2 shown]
	v_mul_u32_u24_sdwa v20, v102, v105 dst_sel:DWORD dst_unused:UNUSED_PAD src0_sel:BYTE_0 src1_sel:DWORD
	s_add_u32 s1, s12, 0xca50
	v_mul_u32_u24_sdwa v40, v99, v105 dst_sel:DWORD dst_unused:UNUSED_PAD src0_sel:WORD_0 src1_sel:DWORD
	v_mul_u32_u24_sdwa v60, v97, v105 dst_sel:DWORD dst_unused:UNUSED_PAD src0_sel:WORD_0 src1_sel:DWORD
	;; [unrolled: 1-line block ×3, first 2 shown]
	v_lshlrev_b32_e32 v32, 4, v20
	s_clause 0x4
	global_load_dwordx4 v[20:23], v32, s[12:13] offset:1392
	global_load_dwordx4 v[24:27], v32, s[12:13] offset:1408
	;; [unrolled: 1-line block ×5, first 2 shown]
	v_lshlrev_b32_e32 v56, 4, v40
	s_clause 0x4
	global_load_dwordx4 v[40:43], v56, s[12:13] offset:1392
	global_load_dwordx4 v[44:47], v56, s[12:13] offset:1408
	;; [unrolled: 1-line block ×5, first 2 shown]
	v_lshlrev_b32_e32 v108, 4, v60
	s_clause 0x3
	global_load_dwordx4 v[60:63], v108, s[12:13] offset:1392
	global_load_dwordx4 v[64:67], v108, s[12:13] offset:1408
	;; [unrolled: 1-line block ×4, first 2 shown]
	ds_read_b128 v[84:87], v104
	ds_read_b128 v[88:91], v130 offset:17280
	ds_read_b128 v[80:83], v130 offset:25920
	;; [unrolled: 1-line block ×3, first 2 shown]
	ds_read_b128 v[92:95], v136
	v_lshlrev_b32_e32 v105, 4, v105
	global_load_dwordx4 v[108:111], v108, s[12:13] offset:1456
	ds_read_b128 v[144:147], v130 offset:43200
	ds_read_b128 v[148:151], v130 offset:19008
	;; [unrolled: 1-line block ×5, first 2 shown]
	global_load_dwordx4 v[164:167], v105, s[12:13] offset:1392
	s_waitcnt vmcnt(20) lgkmcnt(9)
	v_mul_f64 v[168:169], v[86:87], v[2:3]
	v_mul_f64 v[2:3], v[84:85], v[2:3]
	s_waitcnt vmcnt(19) lgkmcnt(8)
	v_mul_f64 v[170:171], v[90:91], v[6:7]
	s_waitcnt vmcnt(18) lgkmcnt(7)
	v_mul_f64 v[172:173], v[82:83], v[14:15]
	v_mul_f64 v[14:15], v[80:81], v[14:15]
	v_mul_f64 v[6:7], v[88:89], v[6:7]
	s_waitcnt vmcnt(17) lgkmcnt(6)
	v_mul_f64 v[174:175], v[78:79], v[10:11]
	v_fma_f64 v[168:169], v[84:85], v[0:1], v[168:169]
	v_fma_f64 v[176:177], v[86:87], v[0:1], -v[2:3]
	global_load_dwordx4 v[0:3], v105, s[12:13] offset:1408
	v_mul_f64 v[84:85], v[76:77], v[10:11]
	v_fma_f64 v[88:89], v[88:89], v[4:5], v[170:171]
	v_fma_f64 v[170:171], v[80:81], v[12:13], v[172:173]
	v_fma_f64 v[172:173], v[82:83], v[12:13], -v[14:15]
	global_load_dwordx4 v[10:13], v105, s[12:13] offset:1424
	s_waitcnt vmcnt(18) lgkmcnt(4)
	v_mul_f64 v[86:87], v[146:147], v[18:19]
	v_mul_f64 v[18:19], v[144:145], v[18:19]
	s_waitcnt vmcnt(17) lgkmcnt(2)
	v_mul_f64 v[178:179], v[154:155], v[22:23]
	v_fma_f64 v[174:175], v[76:77], v[8:9], v[174:175]
	v_mul_f64 v[22:23], v[152:153], v[22:23]
	v_fma_f64 v[90:91], v[90:91], v[4:5], -v[6:7]
	ds_read_b128 v[4:7], v130 offset:44928
	ds_read_b128 v[80:83], v130 offset:12096
	v_fma_f64 v[8:9], v[78:79], v[8:9], -v[84:85]
	ds_read_b128 v[76:79], v130 offset:27648
	s_waitcnt vmcnt(16)
	v_mul_f64 v[84:85], v[150:151], v[26:27]
	v_mul_f64 v[26:27], v[148:149], v[26:27]
	v_fma_f64 v[144:145], v[144:145], v[16:17], v[86:87]
	v_fma_f64 v[146:147], v[146:147], v[16:17], -v[18:19]
	ds_read_b128 v[14:17], v130 offset:29376
	v_fma_f64 v[152:153], v[152:153], v[20:21], v[178:179]
	v_fma_f64 v[154:155], v[154:155], v[20:21], -v[22:23]
	ds_read_b128 v[18:21], v130 offset:36288
	s_waitcnt vmcnt(13) lgkmcnt(4)
	v_mul_f64 v[178:179], v[6:7], v[34:35]
	s_waitcnt lgkmcnt(2)
	v_mul_f64 v[180:181], v[78:79], v[38:39]
	v_mul_f64 v[38:39], v[76:77], v[38:39]
	v_fma_f64 v[148:149], v[148:149], v[24:25], v[84:85]
	v_fma_f64 v[150:151], v[150:151], v[24:25], -v[26:27]
	s_clause 0x1
	global_load_dwordx4 v[22:25], v105, s[12:13] offset:1440
	global_load_dwordx4 v[84:87], v105, s[12:13] offset:1456
	v_cndmask_b32_e64 v105, 0, 0x21c0, s0
	s_waitcnt lgkmcnt(0)
	v_mul_f64 v[26:27], v[20:21], v[30:31]
	v_mul_f64 v[30:31], v[18:19], v[30:31]
	v_add3_u32 v105, 0, v105, v100
	v_mov_b32_e32 v100, 0x21c0
	v_mul_u32_u24_sdwa v100, v101, v100 dst_sel:DWORD dst_unused:UNUSED_PAD src0_sel:WORD_0 src1_sel:DWORD
	v_lshlrev_b32_sdwa v101, v106, v102 dst_sel:DWORD dst_unused:UNUSED_PAD src0_sel:DWORD src1_sel:BYTE_0
	v_fma_f64 v[76:77], v[76:77], v[36:37], v[180:181]
	v_fma_f64 v[78:79], v[78:79], v[36:37], -v[38:39]
	ds_read_b128 v[36:39], v130 offset:38016
	v_add3_u32 v102, 0, v100, v101
	v_fma_f64 v[180:181], v[18:19], v[28:29], v[26:27]
	v_mul_f64 v[18:19], v[4:5], v[34:35]
	s_waitcnt vmcnt(14)
	v_mul_f64 v[26:27], v[82:83], v[42:43]
	v_fma_f64 v[182:183], v[20:21], v[28:29], -v[30:31]
	v_mul_f64 v[28:29], v[80:81], v[42:43]
	v_fma_f64 v[34:35], v[4:5], v[32:33], v[178:179]
	v_add_f64 v[178:179], v[90:91], v[8:9]
	v_fma_f64 v[42:43], v[6:7], v[32:33], -v[18:19]
	ds_read_b128 v[4:7], v130 offset:20736
	ds_read_b128 v[18:21], v130 offset:22464
	v_fma_f64 v[80:81], v[80:81], v[40:41], v[26:27]
	v_fma_f64 v[40:41], v[82:83], v[40:41], -v[28:29]
	s_waitcnt vmcnt(12)
	v_mul_f64 v[28:29], v[16:17], v[50:51]
	v_mul_f64 v[32:33], v[14:15], v[50:51]
	s_waitcnt lgkmcnt(1)
	v_mul_f64 v[30:31], v[6:7], v[46:47]
	v_mul_f64 v[26:27], v[4:5], v[46:47]
	s_waitcnt vmcnt(11)
	v_mul_f64 v[46:47], v[38:39], v[54:55]
	v_add_f64 v[184:185], v[78:79], -v[42:43]
	v_fma_f64 v[50:51], v[4:5], v[44:45], v[30:31]
	v_fma_f64 v[44:45], v[6:7], v[44:45], -v[26:27]
	ds_read_b128 v[4:7], v130 offset:46656
	v_mul_f64 v[26:27], v[36:37], v[54:55]
	v_fma_f64 v[54:55], v[14:15], v[48:49], v[28:29]
	v_fma_f64 v[48:49], v[16:17], v[48:49], -v[32:33]
	ds_read_b128 v[14:17], v130 offset:48384
	v_fma_f64 v[46:47], v[36:37], v[52:53], v[46:47]
	s_waitcnt vmcnt(10) lgkmcnt(1)
	v_mul_f64 v[82:83], v[6:7], v[58:59]
	v_mul_f64 v[58:59], v[4:5], v[58:59]
	v_fma_f64 v[52:53], v[38:39], v[52:53], -v[26:27]
	ds_read_b128 v[26:29], v130 offset:13824
	ds_read_b128 v[30:33], v130 offset:15552
	s_waitcnt vmcnt(8)
	v_mul_f64 v[38:39], v[20:21], v[66:67]
	v_fma_f64 v[82:83], v[4:5], v[56:57], v[82:83]
	s_waitcnt lgkmcnt(1)
	v_mul_f64 v[36:37], v[28:29], v[62:63]
	v_mul_f64 v[4:5], v[26:27], v[62:63]
	v_fma_f64 v[56:57], v[6:7], v[56:57], -v[58:59]
	v_mul_f64 v[58:59], v[18:19], v[66:67]
	v_fma_f64 v[66:67], v[18:19], v[64:65], v[38:39]
	v_fma_f64 v[62:63], v[26:27], v[60:61], v[36:37]
	v_fma_f64 v[60:61], v[28:29], v[60:61], -v[4:5]
	ds_read_b128 v[4:7], v130 offset:31104
	ds_read_b128 v[26:29], v139
	v_fma_f64 v[58:59], v[20:21], v[64:65], -v[58:59]
	ds_read_b128 v[18:21], v130 offset:39744
	s_waitcnt vmcnt(7) lgkmcnt(2)
	v_mul_f64 v[36:37], v[6:7], v[70:71]
	v_mul_f64 v[38:39], v[4:5], v[70:71]
	s_waitcnt vmcnt(5)
	v_mul_f64 v[70:71], v[16:17], v[110:111]
	v_fma_f64 v[64:65], v[4:5], v[68:69], v[36:37]
	v_fma_f64 v[68:69], v[6:7], v[68:69], -v[38:39]
	ds_read_b128 v[4:7], v130 offset:41472
	s_waitcnt lgkmcnt(1)
	v_mul_f64 v[36:37], v[20:21], v[74:75]
	v_mul_f64 v[38:39], v[18:19], v[74:75]
	v_fma_f64 v[70:71], v[14:15], v[108:109], v[70:71]
	v_fma_f64 v[74:75], v[18:19], v[72:73], v[36:37]
	v_fma_f64 v[72:73], v[20:21], v[72:73], -v[38:39]
	v_mul_f64 v[18:19], v[14:15], v[110:111]
	v_add_f64 v[20:21], v[172:173], v[146:147]
	s_waitcnt vmcnt(4)
	v_mul_f64 v[36:37], v[32:33], v[166:167]
	v_mul_f64 v[38:39], v[30:31], v[166:167]
	v_add_f64 v[110:111], v[170:171], -v[144:145]
	v_fma_f64 v[108:109], v[16:17], v[108:109], -v[18:19]
	v_fma_f64 v[18:19], v[20:21], -0.5, v[176:177]
	v_add_f64 v[20:21], v[170:171], v[144:145]
	v_fma_f64 v[166:167], v[30:31], v[164:165], v[36:37]
	v_fma_f64 v[164:165], v[32:33], v[164:165], -v[38:39]
	v_add_f64 v[36:37], v[172:173], -v[146:147]
	v_add_f64 v[38:39], v[88:89], v[174:175]
	s_waitcnt vmcnt(3)
	v_mul_f64 v[16:17], v[158:159], v[2:3]
	v_mul_f64 v[2:3], v[156:157], v[2:3]
	s_waitcnt vmcnt(2)
	v_mul_f64 v[30:31], v[162:163], v[12:13]
	v_mul_f64 v[32:33], v[160:161], v[12:13]
	ds_read_b128 v[12:15], v130
	v_fma_f64 v[156:157], v[156:157], v[0:1], v[16:17]
	v_fma_f64 v[16:17], v[20:21], -0.5, v[168:169]
	v_fma_f64 v[158:159], v[158:159], v[0:1], -v[2:3]
	ds_read_b128 v[0:3], v130 offset:50112
	v_fma_f64 v[20:21], v[110:111], s[4:5], v[18:19]
	v_fma_f64 v[18:19], v[110:111], s[6:7], v[18:19]
	;; [unrolled: 1-line block ×3, first 2 shown]
	v_fma_f64 v[160:161], v[162:163], v[10:11], -v[32:33]
	s_waitcnt lgkmcnt(1)
	v_add_f64 v[10:11], v[12:13], v[88:89]
	v_add_f64 v[30:31], v[14:15], v[90:91]
	;; [unrolled: 1-line block ×5, first 2 shown]
	v_fma_f64 v[12:13], v[38:39], -0.5, v[12:13]
	v_add_f64 v[38:39], v[90:91], -v[8:9]
	v_fma_f64 v[14:15], v[178:179], -0.5, v[14:15]
	v_add_f64 v[88:89], v[88:89], -v[174:175]
	v_add_f64 v[78:79], v[154:155], v[78:79]
	v_fma_f64 v[172:173], v[36:37], s[6:7], v[16:17]
	v_fma_f64 v[16:17], v[36:37], s[4:5], v[16:17]
	v_mul_f64 v[170:171], v[20:21], s[6:7]
	v_mul_f64 v[20:21], v[20:21], 0.5
	v_mul_f64 v[36:37], v[18:19], s[6:7]
	v_mul_f64 v[18:19], v[18:19], -0.5
	v_add_f64 v[10:11], v[10:11], v[174:175]
	s_waitcnt vmcnt(0) lgkmcnt(0)
	v_mul_f64 v[174:175], v[2:3], v[86:87]
	v_add_f64 v[8:9], v[30:31], v[8:9]
	v_mul_f64 v[30:31], v[0:1], v[86:87]
	v_mul_f64 v[90:91], v[6:7], v[24:25]
	;; [unrolled: 1-line block ×3, first 2 shown]
	v_add_f64 v[32:33], v[32:33], v[144:145]
	v_add_f64 v[86:87], v[162:163], v[146:147]
	v_fma_f64 v[144:145], v[168:169], -0.5, v[154:155]
	v_add_f64 v[146:147], v[76:77], v[34:35]
	v_add_f64 v[162:163], v[76:77], -v[34:35]
	v_add_f64 v[76:77], v[152:153], v[76:77]
	v_add_f64 v[42:43], v[78:79], v[42:43]
	v_fma_f64 v[168:169], v[172:173], 0.5, v[170:171]
	v_fma_f64 v[20:21], v[172:173], s[4:5], v[20:21]
	v_fma_f64 v[170:171], v[38:39], s[6:7], v[12:13]
	;; [unrolled: 1-line block ×5, first 2 shown]
	v_fma_f64 v[36:37], v[16:17], -0.5, v[36:37]
	v_fma_f64 v[176:177], v[16:17], s[4:5], v[18:19]
	v_fma_f64 v[174:175], v[0:1], v[84:85], v[174:175]
	v_fma_f64 v[84:85], v[2:3], v[84:85], -v[30:31]
	v_add_f64 v[18:19], v[148:149], v[180:181]
	v_add_f64 v[30:31], v[48:49], v[56:57]
	v_fma_f64 v[90:91], v[4:5], v[22:23], v[90:91]
	v_fma_f64 v[178:179], v[6:7], v[22:23], -v[24:25]
	v_fma_f64 v[146:147], v[146:147], -0.5, v[152:153]
	v_fma_f64 v[24:25], v[162:163], s[4:5], v[144:145]
	v_add_f64 v[0:1], v[10:11], v[32:33]
	v_add_f64 v[4:5], v[10:11], -v[32:33]
	v_add_f64 v[32:33], v[150:151], v[182:183]
	v_fma_f64 v[144:145], v[162:163], s[6:7], v[144:145]
	v_add_f64 v[2:3], v[8:9], v[86:87]
	v_add_f64 v[6:7], v[8:9], -v[86:87]
	v_add_f64 v[86:87], v[28:29], v[150:151]
	v_add_f64 v[34:35], v[76:77], v[34:35]
	;; [unrolled: 1-line block ×3, first 2 shown]
	v_add_f64 v[12:13], v[170:171], -v[168:169]
	v_add_f64 v[10:11], v[172:173], v[20:21]
	v_add_f64 v[168:169], v[26:27], v[148:149]
	v_add_f64 v[14:15], v[172:173], -v[20:21]
	v_add_f64 v[16:17], v[38:39], v[36:37]
	v_add_f64 v[20:21], v[38:39], -v[36:37]
	v_add_f64 v[22:23], v[88:89], -v[176:177]
	v_fma_f64 v[152:153], v[18:19], -0.5, v[26:27]
	v_add_f64 v[18:19], v[88:89], v[176:177]
	v_fma_f64 v[36:37], v[30:31], -0.5, v[40:41]
	v_add_f64 v[38:39], v[54:55], v[82:83]
	v_add_f64 v[88:89], v[54:55], -v[82:83]
	v_add_f64 v[148:149], v[148:149], -v[180:181]
	v_fma_f64 v[76:77], v[184:185], s[4:5], v[146:147]
	v_mul_f64 v[154:155], v[24:25], s[6:7]
	v_fma_f64 v[32:33], v[32:33], -0.5, v[28:29]
	v_mul_f64 v[78:79], v[144:145], s[6:7]
	v_mul_f64 v[144:145], v[144:145], -0.5
	v_fma_f64 v[162:163], v[184:185], s[6:7], v[146:147]
	v_add_f64 v[150:151], v[150:151], -v[182:183]
	v_mul_f64 v[170:171], v[24:25], 0.5
	v_add_f64 v[86:87], v[86:87], v[182:183]
	v_add_f64 v[172:173], v[50:51], v[46:47]
	;; [unrolled: 1-line block ×4, first 2 shown]
	v_add_f64 v[182:183], v[48:49], -v[56:57]
	ds_read_b128 v[24:27], v138
	ds_read_b128 v[28:31], v137
	s_waitcnt lgkmcnt(0)
	s_barrier
	buffer_gl0_inv
	ds_write_b128 v105, v[0:3]
	ds_write_b128 v105, v[8:11] offset:1440
	v_fma_f64 v[38:39], v[38:39], -0.5, v[80:81]
	v_fma_f64 v[180:181], v[88:89], s[4:5], v[36:37]
	v_fma_f64 v[36:37], v[88:89], s[6:7], v[36:37]
	v_add_f64 v[54:55], v[80:81], v[54:55]
	v_add_f64 v[48:49], v[40:41], v[48:49]
	v_fma_f64 v[88:89], v[148:149], s[6:7], v[32:33]
	v_fma_f64 v[78:79], v[76:77], -0.5, v[78:79]
	v_fma_f64 v[76:77], v[76:77], s[4:5], v[144:145]
	v_fma_f64 v[146:147], v[162:163], 0.5, v[154:155]
	v_fma_f64 v[154:155], v[150:151], s[6:7], v[152:153]
	v_fma_f64 v[162:163], v[162:163], s[4:5], v[170:171]
	;; [unrolled: 1-line block ×4, first 2 shown]
	v_add_f64 v[2:3], v[86:87], v[42:43]
	v_add_f64 v[0:1], v[168:169], v[34:35]
	v_add_f64 v[8:9], v[168:169], -v[34:35]
	v_add_f64 v[10:11], v[86:87], -v[42:43]
	v_fma_f64 v[86:87], v[172:173], -0.5, v[24:25]
	v_fma_f64 v[144:145], v[176:177], -0.5, v[26:27]
	v_add_f64 v[148:149], v[24:25], v[50:51]
	v_add_f64 v[152:153], v[26:27], v[44:45]
	v_add_f64 v[44:45], v[44:45], -v[52:53]
	v_fma_f64 v[168:169], v[182:183], s[6:7], v[38:39]
	v_mul_f64 v[80:81], v[180:181], s[6:7]
	v_mul_f64 v[172:173], v[180:181], 0.5
	v_add_f64 v[50:51], v[50:51], -v[46:47]
	v_fma_f64 v[176:177], v[182:183], s[4:5], v[38:39]
	v_mul_f64 v[180:181], v[36:37], s[6:7]
	v_mul_f64 v[182:183], v[36:37], -0.5
	v_add_f64 v[38:39], v[88:89], v[76:77]
	v_add_f64 v[42:43], v[88:89], -v[76:77]
	v_add_f64 v[76:77], v[68:69], v[108:109]
	v_add_f64 v[32:33], v[154:155], v[146:147]
	v_add_f64 v[34:35], v[170:171], v[162:163]
	v_add_f64 v[36:37], v[150:151], v[78:79]
	v_add_f64 v[24:25], v[154:155], -v[146:147]
	v_add_f64 v[26:27], v[170:171], -v[162:163]
	;; [unrolled: 1-line block ×3, first 2 shown]
	v_add_f64 v[54:55], v[54:55], v[82:83]
	v_add_f64 v[48:49], v[48:49], v[56:57]
	;; [unrolled: 1-line block ×5, first 2 shown]
	ds_write_b128 v105, v[16:19] offset:2880
	ds_write_b128 v105, v[4:7] offset:4320
	;; [unrolled: 1-line block ×4, first 2 shown]
	ds_write_b128 v102, v[0:3]
	ds_write_b128 v102, v[32:35] offset:1440
	ds_write_b128 v102, v[36:39] offset:2880
	;; [unrolled: 1-line block ×4, first 2 shown]
	v_fma_f64 v[56:57], v[168:169], 0.5, v[80:81]
	v_fma_f64 v[78:79], v[168:169], s[4:5], v[172:173]
	v_fma_f64 v[80:81], v[44:45], s[6:7], v[86:87]
	;; [unrolled: 1-line block ×5, first 2 shown]
	v_fma_f64 v[86:87], v[176:177], -0.5, v[180:181]
	v_fma_f64 v[88:89], v[176:177], s[4:5], v[182:183]
	v_fma_f64 v[24:25], v[76:77], -0.5, v[60:61]
	v_add_f64 v[20:21], v[64:65], v[70:71]
	v_add_f64 v[26:27], v[64:65], -v[70:71]
	v_fma_f64 v[34:35], v[100:101], -0.5, v[164:165]
	v_add_f64 v[0:1], v[46:47], v[54:55]
	v_add_f64 v[2:3], v[52:53], v[48:49]
	v_add_f64 v[36:37], v[110:111], v[174:175]
	v_add_f64 v[38:39], v[110:111], -v[174:175]
	ds_write_b128 v102, v[40:43] offset:7200
	v_add_f64 v[4:5], v[46:47], -v[54:55]
	v_add_f64 v[32:33], v[66:67], v[74:75]
	v_add_f64 v[40:41], v[58:59], v[72:73]
	;; [unrolled: 1-line block ×3, first 2 shown]
	v_add_f64 v[6:7], v[52:53], -v[48:49]
	v_add_f64 v[52:53], v[68:69], -v[108:109]
	v_mul_u32_u24_e32 v22, 0x21c0, v98
	v_add_f64 v[8:9], v[80:81], v[56:57]
	v_add_f64 v[10:11], v[82:83], v[78:79]
	v_lshlrev_b32_sdwa v23, v106, v99 dst_sel:DWORD dst_unused:UNUSED_PAD src0_sel:DWORD src1_sel:WORD_0
	v_add_f64 v[18:19], v[82:83], -v[78:79]
	v_add_f64 v[12:13], v[44:45], v[86:87]
	v_add_f64 v[14:15], v[50:51], v[88:89]
	v_add_f64 v[16:17], v[80:81], -v[56:57]
	v_fma_f64 v[46:47], v[20:21], -0.5, v[62:63]
	v_fma_f64 v[48:49], v[26:27], s[4:5], v[24:25]
	v_fma_f64 v[24:25], v[26:27], s[6:7], v[24:25]
	v_add3_u32 v78, 0, v22, v23
	v_add_f64 v[20:21], v[44:45], -v[86:87]
	v_add_f64 v[22:23], v[50:51], -v[88:89]
	v_add_f64 v[54:55], v[94:95], v[158:159]
	v_add_f64 v[56:57], v[166:167], v[110:111]
	ds_write_b128 v78, v[0:3]
	v_add_f64 v[0:1], v[156:157], v[90:91]
	v_add_f64 v[2:3], v[158:159], v[178:179]
	ds_write_b128 v78, v[8:11] offset:1440
	ds_write_b128 v78, v[12:15] offset:2880
	v_fma_f64 v[10:11], v[36:37], -0.5, v[166:167]
	v_fma_f64 v[12:13], v[38:39], s[4:5], v[34:35]
	v_add_f64 v[14:15], v[160:161], -v[84:85]
	v_fma_f64 v[34:35], v[38:39], s[6:7], v[34:35]
	v_fma_f64 v[8:9], v[32:33], -0.5, v[28:29]
	v_fma_f64 v[26:27], v[40:41], -0.5, v[30:31]
	v_add_f64 v[28:29], v[30:31], v[58:59]
	v_add_f64 v[30:31], v[42:43], v[74:75]
	;; [unrolled: 1-line block ×4, first 2 shown]
	v_add_f64 v[38:39], v[58:59], -v[72:73]
	v_add_f64 v[40:41], v[66:67], -v[74:75]
	v_mul_f64 v[42:43], v[48:49], s[6:7]
	v_fma_f64 v[44:45], v[52:53], s[6:7], v[46:47]
	v_mul_f64 v[48:49], v[48:49], 0.5
	v_fma_f64 v[46:47], v[52:53], s[4:5], v[46:47]
	v_mul_f64 v[50:51], v[24:25], s[6:7]
	v_mul_f64 v[24:25], v[24:25], -0.5
	v_add_f64 v[52:53], v[92:93], v[156:157]
	v_add_f64 v[58:59], v[164:165], v[160:161]
	v_fma_f64 v[0:1], v[0:1], -0.5, v[92:93]
	v_fma_f64 v[2:3], v[2:3], -0.5, v[94:95]
	v_add_f64 v[64:65], v[158:159], -v[178:179]
	v_mul_f64 v[60:61], v[12:13], s[6:7]
	v_fma_f64 v[62:63], v[14:15], s[6:7], v[10:11]
	v_mul_f64 v[12:13], v[12:13], 0.5
	v_add_f64 v[66:67], v[156:157], -v[90:91]
	v_fma_f64 v[10:11], v[14:15], s[4:5], v[10:11]
	v_mul_f64 v[14:15], v[34:35], s[6:7]
	v_mul_f64 v[34:35], v[34:35], -0.5
	v_add_f64 v[28:29], v[28:29], v[72:73]
	v_add_f64 v[32:33], v[32:33], v[70:71]
	;; [unrolled: 1-line block ×3, first 2 shown]
	v_fma_f64 v[68:69], v[40:41], s[4:5], v[26:27]
	v_fma_f64 v[40:41], v[40:41], s[6:7], v[26:27]
	v_fma_f64 v[42:43], v[44:45], 0.5, v[42:43]
	v_fma_f64 v[44:45], v[44:45], s[4:5], v[48:49]
	v_fma_f64 v[48:49], v[38:39], s[6:7], v[8:9]
	;; [unrolled: 1-line block ×3, first 2 shown]
	v_fma_f64 v[50:51], v[46:47], -0.5, v[50:51]
	v_fma_f64 v[46:47], v[46:47], s[4:5], v[24:25]
	v_add_f64 v[52:53], v[52:53], v[90:91]
	v_add_f64 v[54:55], v[54:55], v[178:179]
	v_add_f64 v[56:57], v[56:57], v[174:175]
	v_add_f64 v[58:59], v[58:59], v[84:85]
	v_fma_f64 v[70:71], v[64:65], s[6:7], v[0:1]
	v_fma_f64 v[60:61], v[62:63], 0.5, v[60:61]
	v_fma_f64 v[62:63], v[62:63], s[4:5], v[12:13]
	v_fma_f64 v[72:73], v[66:67], s[4:5], v[2:3]
	;; [unrolled: 1-line block ×4, first 2 shown]
	v_fma_f64 v[74:75], v[10:11], -0.5, v[14:15]
	v_fma_f64 v[76:77], v[10:11], s[4:5], v[34:35]
	v_add_f64 v[0:1], v[30:31], v[32:33]
	v_add_f64 v[2:3], v[28:29], v[36:37]
	ds_write_b128 v78, v[4:7] offset:4320
	v_add_f64 v[4:5], v[30:31], -v[32:33]
	v_add_f64 v[6:7], v[28:29], -v[36:37]
	v_add_f64 v[10:11], v[68:69], v[44:45]
	v_add_f64 v[8:9], v[48:49], v[42:43]
	v_add_f64 v[12:13], v[48:49], -v[42:43]
	v_add_f64 v[24:25], v[38:39], v[50:51]
	v_add_f64 v[26:27], v[40:41], v[46:47]
	v_add_f64 v[14:15], v[68:69], -v[44:45]
	v_add_f64 v[28:29], v[38:39], -v[50:51]
	;; [unrolled: 1-line block ×3, first 2 shown]
	v_add_f64 v[32:33], v[52:53], v[56:57]
	v_add_f64 v[34:35], v[54:55], v[58:59]
	v_mul_u32_u24_e32 v48, 0x21c0, v96
	v_lshlrev_b32_sdwa v49, v106, v97 dst_sel:DWORD dst_unused:UNUSED_PAD src0_sel:DWORD src1_sel:WORD_0
	v_add_f64 v[40:41], v[70:71], v[60:61]
	v_add_f64 v[42:43], v[72:73], v[62:63]
	ds_write_b128 v78, v[16:19] offset:5760
	ds_write_b128 v78, v[20:23] offset:7200
	v_add_f64 v[16:17], v[70:71], -v[60:61]
	v_add_f64 v[18:19], v[72:73], -v[62:63]
	v_add_f64 v[44:45], v[64:65], v[74:75]
	v_add_f64 v[46:47], v[66:67], v[76:77]
	v_add_f64 v[36:37], v[52:53], -v[56:57]
	v_add_f64 v[38:39], v[54:55], -v[58:59]
	v_add3_u32 v48, 0, v48, v49
	v_lshlrev_b32_sdwa v20, v106, v107 dst_sel:DWORD dst_unused:UNUSED_PAD src0_sel:DWORD src1_sel:WORD_0
	v_mul_u32_u24_e32 v21, 0x21c0, v103
	ds_write_b128 v48, v[0:3]
	v_add_f64 v[0:1], v[64:65], -v[74:75]
	v_add_f64 v[2:3], v[66:67], -v[76:77]
	ds_write_b128 v48, v[8:11] offset:1440
	ds_write_b128 v48, v[24:27] offset:2880
	v_mul_u32_u24_e32 v9, 5, v112
	v_add3_u32 v8, 0, v21, v20
	ds_write_b128 v48, v[4:7] offset:4320
	ds_write_b128 v48, v[12:15] offset:5760
	;; [unrolled: 1-line block ×3, first 2 shown]
	ds_write_b128 v8, v[32:35]
	ds_write_b128 v8, v[40:43] offset:1440
	ds_write_b128 v8, v[44:47] offset:2880
	;; [unrolled: 1-line block ×3, first 2 shown]
	v_lshlrev_b32_e32 v4, 4, v9
	ds_write_b128 v8, v[16:19] offset:5760
	v_lshlrev_b64 v[18:19], 4, v[128:129]
	v_mul_i32_i24_e32 v128, 5, v127
	v_add_co_u32 v4, s0, s12, v4
	v_add_co_ci_u32_e64 v5, null, s13, 0, s0
	ds_write_b128 v8, v[0:3] offset:7200
	v_add_co_u32 v16, s0, 0x2000, v4
	v_add_co_ci_u32_e64 v17, s0, 0, v5, s0
	s_waitcnt lgkmcnt(0)
	s_barrier
	buffer_gl0_inv
	global_load_dwordx4 v[0:3], v[16:17], off offset:400
	v_add_co_u32 v12, s0, 0x2190, v4
	v_add_co_ci_u32_e64 v13, s0, 0, v5, s0
	s_clause 0x2
	global_load_dwordx4 v[4:7], v[12:13], off offset:16
	global_load_dwordx4 v[8:11], v[12:13], off offset:32
	;; [unrolled: 1-line block ×3, first 2 shown]
	v_add_co_u32 v20, s0, s12, v18
	v_add_co_ci_u32_e64 v21, s0, s13, v19, s0
	global_load_dwordx4 v[16:19], v[16:17], off offset:464
	v_add_co_u32 v36, s0, 0x2000, v20
	v_add_co_ci_u32_e64 v37, s0, 0, v21, s0
	v_add_co_u32 v28, s0, 0x2190, v20
	v_add_co_ci_u32_e64 v29, s0, 0, v21, s0
	s_clause 0x2
	global_load_dwordx4 v[24:27], v[36:37], off offset:400
	global_load_dwordx4 v[20:23], v[28:29], off offset:16
	;; [unrolled: 1-line block ×3, first 2 shown]
	v_lshlrev_b64 v[38:39], 4, v[128:129]
	global_load_dwordx4 v[28:31], v[28:29], off offset:48
	v_mul_i32_i24_e32 v128, 5, v126
	v_add_co_u32 v44, s0, s12, v38
	v_add_co_ci_u32_e64 v45, s0, s13, v39, s0
	global_load_dwordx4 v[36:39], v[36:37], off offset:464
	v_add_co_u32 v56, s0, 0x2000, v44
	v_add_co_ci_u32_e64 v57, s0, 0, v45, s0
	v_add_co_u32 v48, s0, 0x2190, v44
	v_add_co_ci_u32_e64 v49, s0, 0, v45, s0
	s_clause 0x2
	global_load_dwordx4 v[40:43], v[56:57], off offset:400
	global_load_dwordx4 v[44:47], v[48:49], off offset:16
	;; [unrolled: 1-line block ×3, first 2 shown]
	v_lshlrev_b64 v[58:59], 4, v[128:129]
	global_load_dwordx4 v[48:51], v[48:49], off offset:48
	v_mul_i32_i24_e32 v128, 5, v125
	v_add_co_u32 v60, s0, s12, v58
	v_add_co_ci_u32_e64 v61, s0, s13, v59, s0
	global_load_dwordx4 v[56:59], v[56:57], off offset:464
	v_add_co_u32 v76, s0, 0x2000, v60
	v_add_co_ci_u32_e64 v77, s0, 0, v61, s0
	v_add_co_u32 v68, s0, 0x2190, v60
	v_add_co_ci_u32_e64 v69, s0, 0, v61, s0
	s_clause 0x4
	global_load_dwordx4 v[64:67], v[76:77], off offset:400
	global_load_dwordx4 v[60:63], v[68:69], off offset:16
	;; [unrolled: 1-line block ×5, first 2 shown]
	v_lshlrev_b64 v[80:81], 4, v[128:129]
	v_add_co_u32 v84, s0, s12, v80
	v_add_co_ci_u32_e64 v85, s0, s13, v81, s0
	v_add_co_u32 v92, s0, 0x2000, v84
	v_add_co_ci_u32_e64 v93, s0, 0, v85, s0
	;; [unrolled: 2-line block ×3, first 2 shown]
	s_clause 0x4
	global_load_dwordx4 v[80:83], v[92:93], off offset:400
	global_load_dwordx4 v[96:99], v[84:85], off offset:16
	;; [unrolled: 1-line block ×5, first 2 shown]
	ds_read_b128 v[108:111], v104
	ds_read_b128 v[104:107], v130 offset:17280
	ds_read_b128 v[100:103], v130 offset:25920
	ds_read_b128 v[144:147], v136
	ds_read_b128 v[148:151], v130 offset:34560
	ds_read_b128 v[152:155], v130 offset:19008
	;; [unrolled: 1-line block ×5, first 2 shown]
	s_waitcnt vmcnt(24) lgkmcnt(8)
	v_mul_f64 v[168:169], v[110:111], v[2:3]
	v_mul_f64 v[2:3], v[108:109], v[2:3]
	s_waitcnt vmcnt(23) lgkmcnt(7)
	v_mul_f64 v[170:171], v[106:107], v[6:7]
	v_mul_f64 v[6:7], v[104:105], v[6:7]
	s_waitcnt vmcnt(22) lgkmcnt(6)
	v_mul_f64 v[172:173], v[102:103], v[10:11]
	v_mul_f64 v[10:11], v[100:101], v[10:11]
	v_fma_f64 v[108:109], v[108:109], v[0:1], v[168:169]
	s_waitcnt vmcnt(21) lgkmcnt(4)
	v_mul_f64 v[168:169], v[150:151], v[14:15]
	v_mul_f64 v[14:15], v[148:149], v[14:15]
	v_fma_f64 v[110:111], v[110:111], v[0:1], -v[2:3]
	ds_read_b128 v[0:3], v130 offset:32832
	v_fma_f64 v[170:171], v[104:105], v[4:5], v[170:171]
	s_waitcnt vmcnt(20) lgkmcnt(3)
	v_mul_f64 v[104:105], v[158:159], v[18:19]
	v_fma_f64 v[174:175], v[106:107], v[4:5], -v[6:7]
	ds_read_b128 v[4:7], v130 offset:44928
	v_fma_f64 v[172:173], v[100:101], v[8:9], v[172:173]
	v_fma_f64 v[176:177], v[102:103], v[8:9], -v[10:11]
	ds_read_b128 v[8:11], v130 offset:12096
	s_waitcnt vmcnt(19) lgkmcnt(3)
	v_mul_f64 v[106:107], v[166:167], v[26:27]
	v_mul_f64 v[26:27], v[164:165], v[26:27]
	;; [unrolled: 1-line block ×3, first 2 shown]
	v_fma_f64 v[148:149], v[148:149], v[12:13], v[168:169]
	v_fma_f64 v[150:151], v[150:151], v[12:13], -v[14:15]
	ds_read_b128 v[12:15], v130 offset:27648
	ds_read_b128 v[100:103], v130 offset:36288
	s_waitcnt vmcnt(18)
	v_mul_f64 v[168:169], v[154:155], v[22:23]
	v_fma_f64 v[156:157], v[156:157], v[16:17], v[104:105]
	v_mul_f64 v[104:105], v[152:153], v[22:23]
	v_fma_f64 v[164:165], v[164:165], v[24:25], v[106:107]
	v_fma_f64 v[166:167], v[166:167], v[24:25], -v[26:27]
	v_fma_f64 v[158:159], v[158:159], v[16:17], -v[18:19]
	ds_read_b128 v[16:19], v130 offset:29376
	ds_read_b128 v[22:25], v130 offset:38016
	s_waitcnt vmcnt(17) lgkmcnt(3)
	v_mul_f64 v[178:179], v[14:15], v[34:35]
	v_mul_f64 v[26:27], v[12:13], v[34:35]
	s_waitcnt vmcnt(16) lgkmcnt(2)
	v_mul_f64 v[34:35], v[102:103], v[30:31]
	v_fma_f64 v[152:153], v[152:153], v[20:21], v[168:169]
	v_fma_f64 v[154:155], v[154:155], v[20:21], -v[104:105]
	v_mul_f64 v[20:21], v[100:101], v[30:31]
	s_waitcnt vmcnt(15)
	v_mul_f64 v[30:31], v[6:7], v[38:39]
	ds_read_b128 v[104:107], v130 offset:20736
	v_fma_f64 v[168:169], v[12:13], v[32:33], v[178:179]
	v_fma_f64 v[32:33], v[14:15], v[32:33], -v[26:27]
	v_mul_f64 v[26:27], v[4:5], v[38:39]
	s_waitcnt vmcnt(14)
	v_mul_f64 v[38:39], v[10:11], v[42:43]
	v_mul_f64 v[42:43], v[8:9], v[42:43]
	v_fma_f64 v[34:35], v[100:101], v[28:29], v[34:35]
	ds_read_b128 v[12:15], v130 offset:22464
	v_fma_f64 v[100:101], v[102:103], v[28:29], -v[20:21]
	s_waitcnt vmcnt(13) lgkmcnt(1)
	v_mul_f64 v[20:21], v[106:107], v[46:47]
	v_fma_f64 v[30:31], v[4:5], v[36:37], v[30:31]
	v_mul_f64 v[28:29], v[104:105], v[46:47]
	s_waitcnt vmcnt(12)
	v_mul_f64 v[46:47], v[18:19], v[54:55]
	v_mul_f64 v[54:55], v[16:17], v[54:55]
	v_fma_f64 v[36:37], v[6:7], v[36:37], -v[26:27]
	ds_read_b128 v[4:7], v130 offset:46656
	v_fma_f64 v[38:39], v[8:9], v[40:41], v[38:39]
	v_fma_f64 v[40:41], v[10:11], v[40:41], -v[42:43]
	ds_read_b128 v[8:11], v130 offset:13824
	s_waitcnt vmcnt(11)
	v_mul_f64 v[42:43], v[24:25], v[50:51]
	v_mul_f64 v[50:51], v[22:23], v[50:51]
	v_fma_f64 v[102:103], v[104:105], v[44:45], v[20:21]
	v_fma_f64 v[44:45], v[106:107], v[44:45], -v[28:29]
	ds_read_b128 v[26:29], v130 offset:48384
	v_fma_f64 v[46:47], v[16:17], v[52:53], v[46:47]
	v_fma_f64 v[52:53], v[18:19], v[52:53], -v[54:55]
	ds_read_b128 v[16:19], v130 offset:15552
	s_waitcnt vmcnt(10) lgkmcnt(3)
	v_mul_f64 v[104:105], v[6:7], v[58:59]
	v_mul_f64 v[58:59], v[4:5], v[58:59]
	s_waitcnt vmcnt(9) lgkmcnt(2)
	v_mul_f64 v[54:55], v[10:11], v[66:67]
	v_mul_f64 v[66:67], v[8:9], v[66:67]
	v_fma_f64 v[42:43], v[22:23], v[48:49], v[42:43]
	v_fma_f64 v[48:49], v[24:25], v[48:49], -v[50:51]
	ds_read_b128 v[20:23], v130 offset:31104
	s_waitcnt vmcnt(8)
	v_mul_f64 v[24:25], v[14:15], v[62:63]
	v_mul_f64 v[50:51], v[12:13], v[62:63]
	v_fma_f64 v[62:63], v[4:5], v[56:57], v[104:105]
	v_fma_f64 v[56:57], v[6:7], v[56:57], -v[58:59]
	ds_read_b128 v[4:7], v130 offset:39744
	v_add_f64 v[58:59], v[176:177], v[158:159]
	v_fma_f64 v[104:105], v[8:9], v[64:65], v[54:55]
	v_fma_f64 v[106:107], v[10:11], v[64:65], -v[66:67]
	ds_read_b128 v[8:11], v139
	s_waitcnt vmcnt(7) lgkmcnt(2)
	v_mul_f64 v[54:55], v[22:23], v[74:75]
	v_mul_f64 v[64:65], v[20:21], v[74:75]
	v_fma_f64 v[178:179], v[12:13], v[60:61], v[24:25]
	v_fma_f64 v[180:181], v[14:15], v[60:61], -v[50:51]
	ds_read_b128 v[12:15], v130 offset:41472
	s_waitcnt vmcnt(5)
	v_mul_f64 v[60:61], v[28:29], v[78:79]
	v_mul_f64 v[66:67], v[26:27], v[78:79]
	s_waitcnt lgkmcnt(2)
	v_mul_f64 v[24:25], v[6:7], v[70:71]
	v_mul_f64 v[50:51], v[4:5], v[70:71]
	v_add_f64 v[70:71], v[32:33], v[36:37]
	v_fma_f64 v[58:59], v[58:59], -0.5, v[110:111]
	v_fma_f64 v[78:79], v[20:21], v[72:73], v[54:55]
	v_fma_f64 v[182:183], v[22:23], v[72:73], -v[64:65]
	v_add_f64 v[20:21], v[172:173], -v[156:157]
	v_add_f64 v[22:23], v[172:173], v[156:157]
	s_waitcnt vmcnt(4)
	v_mul_f64 v[54:55], v[18:19], v[82:83]
	v_mul_f64 v[64:65], v[16:17], v[82:83]
	v_fma_f64 v[186:187], v[26:27], v[76:77], v[60:61]
	v_fma_f64 v[76:77], v[28:29], v[76:77], -v[66:67]
	v_add_f64 v[28:29], v[176:177], -v[158:159]
	s_waitcnt vmcnt(3)
	v_mul_f64 v[60:61], v[162:163], v[98:99]
	v_mul_f64 v[66:67], v[160:161], v[98:99]
	v_fma_f64 v[82:83], v[4:5], v[68:69], v[24:25]
	v_fma_f64 v[184:185], v[6:7], v[68:69], -v[50:51]
	ds_read_b128 v[4:7], v130
	v_add_f64 v[24:25], v[170:171], v[148:149]
	v_add_f64 v[50:51], v[174:175], v[150:151]
	s_waitcnt vmcnt(2)
	v_mul_f64 v[68:69], v[2:3], v[90:91]
	v_fma_f64 v[70:71], v[70:71], -0.5, v[166:167]
	v_fma_f64 v[26:27], v[20:21], s[4:5], v[58:59]
	v_fma_f64 v[22:23], v[22:23], -0.5, v[108:109]
	v_fma_f64 v[98:99], v[16:17], v[80:81], v[54:55]
	v_fma_f64 v[80:81], v[18:19], v[80:81], -v[64:65]
	ds_read_b128 v[16:19], v130 offset:50112
	v_add_f64 v[64:65], v[108:109], v[172:173]
	v_add_f64 v[108:109], v[174:175], -v[150:151]
	v_fma_f64 v[20:21], v[20:21], s[6:7], v[58:59]
	v_mul_f64 v[58:59], v[0:1], v[90:91]
	v_fma_f64 v[90:91], v[160:161], v[96:97], v[60:61]
	v_fma_f64 v[96:97], v[162:163], v[96:97], -v[66:67]
	s_waitcnt vmcnt(1) lgkmcnt(2)
	v_mul_f64 v[60:61], v[14:15], v[86:87]
	v_mul_f64 v[66:67], v[12:13], v[86:87]
	s_waitcnt lgkmcnt(1)
	v_add_f64 v[54:55], v[4:5], v[170:171]
	v_add_f64 v[172:173], v[44:45], -v[48:49]
	v_fma_f64 v[24:25], v[24:25], -0.5, v[4:5]
	v_fma_f64 v[50:51], v[50:51], -0.5, v[6:7]
	v_add_f64 v[4:5], v[6:7], v[174:175]
	v_add_f64 v[6:7], v[110:111], v[176:177]
	v_add_f64 v[110:111], v[170:171], -v[148:149]
	v_fma_f64 v[160:161], v[0:1], v[88:89], v[68:69]
	v_mul_f64 v[72:73], v[26:27], s[6:7]
	v_fma_f64 v[74:75], v[28:29], s[6:7], v[22:23]
	v_mul_f64 v[26:27], v[26:27], 0.5
	s_waitcnt vmcnt(0) lgkmcnt(0)
	v_mul_f64 v[86:87], v[18:19], v[94:95]
	v_mul_f64 v[94:95], v[16:17], v[94:95]
	v_add_f64 v[64:65], v[64:65], v[156:157]
	v_add_f64 v[156:157], v[168:169], -v[30:31]
	v_fma_f64 v[22:23], v[28:29], s[4:5], v[22:23]
	v_mul_f64 v[28:29], v[20:21], s[6:7]
	v_mul_f64 v[20:21], v[20:21], -0.5
	v_fma_f64 v[88:89], v[2:3], v[88:89], -v[58:59]
	v_fma_f64 v[162:163], v[12:13], v[84:85], v[60:61]
	v_fma_f64 v[84:85], v[14:15], v[84:85], -v[66:67]
	v_add_f64 v[54:55], v[54:55], v[148:149]
	v_add_f64 v[148:149], v[168:169], v[30:31]
	;; [unrolled: 1-line block ×4, first 2 shown]
	v_add_f64 v[174:175], v[182:183], -v[76:77]
	v_add_f64 v[68:69], v[4:5], v[150:151]
	v_add_f64 v[6:7], v[6:7], v[158:159]
	v_add_f64 v[158:159], v[52:53], v[56:57]
	v_fma_f64 v[150:151], v[110:111], s[4:5], v[50:51]
	v_fma_f64 v[50:51], v[110:111], s[6:7], v[50:51]
	v_fma_f64 v[72:73], v[74:75], 0.5, v[72:73]
	v_fma_f64 v[26:27], v[74:75], s[4:5], v[26:27]
	v_fma_f64 v[74:75], v[108:109], s[6:7], v[24:25]
	;; [unrolled: 1-line block ×3, first 2 shown]
	v_fma_f64 v[92:93], v[18:19], v[92:93], -v[94:95]
	v_add_f64 v[18:19], v[152:153], v[34:35]
	v_fma_f64 v[94:95], v[156:157], s[4:5], v[70:71]
	v_fma_f64 v[24:25], v[108:109], s[4:5], v[24:25]
	;; [unrolled: 1-line block ×4, first 2 shown]
	v_add_f64 v[152:153], v[152:153], -v[34:35]
	v_fma_f64 v[28:29], v[22:23], -0.5, v[28:29]
	v_add_f64 v[0:1], v[54:55], v[64:65]
	v_fma_f64 v[66:67], v[148:149], -0.5, v[164:165]
	v_add_f64 v[148:149], v[32:33], -v[36:37]
	v_add_f64 v[164:165], v[154:155], v[100:101]
	v_add_f64 v[4:5], v[54:55], -v[64:65]
	v_add_f64 v[64:65], v[46:47], v[62:63]
	v_add_f64 v[2:3], v[68:69], v[6:7]
	v_add_f64 v[6:7], v[68:69], -v[6:7]
	v_fma_f64 v[54:55], v[158:159], -0.5, v[40:41]
	v_add_f64 v[68:69], v[46:47], -v[62:63]
	v_add_f64 v[32:33], v[166:167], v[32:33]
	v_add_f64 v[60:61], v[60:61], v[30:31]
	;; [unrolled: 1-line block ×3, first 2 shown]
	v_add_f64 v[16:17], v[74:75], -v[72:73]
	v_add_f64 v[72:73], v[10:11], v[154:155]
	v_fma_f64 v[74:75], v[18:19], -0.5, v[8:9]
	v_mul_f64 v[30:31], v[94:95], s[6:7]
	v_mul_f64 v[94:95], v[94:95], 0.5
	v_add_f64 v[154:155], v[154:155], -v[100:101]
	v_add_f64 v[14:15], v[150:151], v[26:27]
	v_add_f64 v[158:159], v[102:103], v[42:43]
	v_add_f64 v[18:19], v[150:151], -v[26:27]
	v_add_f64 v[166:167], v[52:53], -v[56:57]
	v_add_f64 v[22:23], v[50:51], v[108:109]
	v_fma_f64 v[110:111], v[148:149], s[6:7], v[66:67]
	v_fma_f64 v[156:157], v[164:165], -0.5, v[10:11]
	v_add_f64 v[164:165], v[44:45], v[48:49]
	v_fma_f64 v[64:65], v[64:65], -0.5, v[38:39]
	ds_read_b128 v[8:11], v138
	v_fma_f64 v[66:67], v[148:149], s[4:5], v[66:67]
	v_add_f64 v[26:27], v[50:51], -v[108:109]
	v_fma_f64 v[150:151], v[68:69], s[4:5], v[54:55]
	v_add_f64 v[36:37], v[32:33], v[36:37]
	v_fma_f64 v[50:51], v[68:69], s[6:7], v[54:55]
	v_mul_f64 v[68:69], v[70:71], -0.5
	v_add_f64 v[58:59], v[58:59], v[34:35]
	ds_read_b128 v[32:35], v137
	v_add_f64 v[72:73], v[72:73], v[100:101]
	v_mul_f64 v[100:101], v[70:71], s[6:7]
	v_add_f64 v[46:47], v[38:39], v[46:47]
	v_add_f64 v[52:53], v[40:41], v[52:53]
	;; [unrolled: 1-line block ×3, first 2 shown]
	v_add_f64 v[24:25], v[24:25], -v[28:29]
	s_waitcnt lgkmcnt(0)
	s_barrier
	buffer_gl0_inv
	v_fma_f64 v[54:55], v[110:111], 0.5, v[30:31]
	v_fma_f64 v[70:71], v[110:111], s[4:5], v[94:95]
	v_fma_f64 v[94:95], v[154:155], s[6:7], v[74:75]
	;; [unrolled: 1-line block ×3, first 2 shown]
	v_fma_f64 v[110:111], v[158:159], -0.5, v[8:9]
	v_fma_f64 v[148:149], v[164:165], -0.5, v[10:11]
	v_add_f64 v[158:159], v[8:9], v[102:103]
	v_add_f64 v[164:165], v[10:11], v[44:45]
	v_mul_f64 v[168:169], v[150:151], s[6:7]
	v_fma_f64 v[170:171], v[166:167], s[6:7], v[64:65]
	v_mul_f64 v[150:151], v[150:151], 0.5
	v_fma_f64 v[74:75], v[154:155], s[4:5], v[74:75]
	v_add_f64 v[154:155], v[182:183], v[76:77]
	v_add_f64 v[102:103], v[102:103], -v[42:43]
	v_fma_f64 v[100:101], v[66:67], -0.5, v[100:101]
	v_add_f64 v[30:31], v[72:73], v[36:37]
	v_fma_f64 v[152:153], v[152:153], s[6:7], v[156:157]
	v_fma_f64 v[64:65], v[166:167], s[4:5], v[64:65]
	v_mul_f64 v[156:157], v[50:51], s[6:7]
	v_mul_f64 v[50:51], v[50:51], -0.5
	v_fma_f64 v[66:67], v[66:67], s[4:5], v[68:69]
	v_add_f64 v[10:11], v[72:73], -v[36:37]
	v_add_f64 v[28:29], v[58:59], v[60:61]
	v_add_f64 v[8:9], v[58:59], -v[60:61]
	v_add_f64 v[36:37], v[94:95], v[54:55]
	;; [unrolled: 2-line block ×3, first 2 shown]
	v_add_f64 v[38:39], v[108:109], v[70:71]
	v_add_f64 v[58:59], v[158:159], v[42:43]
	;; [unrolled: 1-line block ×5, first 2 shown]
	v_fma_f64 v[72:73], v[170:171], 0.5, v[168:169]
	v_fma_f64 v[94:95], v[170:171], s[4:5], v[150:151]
	v_fma_f64 v[150:151], v[172:173], s[6:7], v[110:111]
	v_add_f64 v[42:43], v[108:109], -v[70:71]
	v_fma_f64 v[108:109], v[154:155], -0.5, v[106:107]
	v_add_f64 v[154:155], v[78:79], -v[186:187]
	v_add_f64 v[70:71], v[78:79], v[186:187]
	v_fma_f64 v[158:159], v[102:103], s[4:5], v[148:149]
	v_add_f64 v[44:45], v[74:75], v[100:101]
	v_fma_f64 v[110:111], v[172:173], s[4:5], v[110:111]
	v_fma_f64 v[102:103], v[102:103], s[6:7], v[148:149]
	v_fma_f64 v[148:149], v[64:65], -0.5, v[156:157]
	v_fma_f64 v[156:157], v[64:65], s[4:5], v[50:51]
	v_add_f64 v[46:47], v[152:153], v[66:67]
	v_add_f64 v[48:49], v[74:75], -v[100:101]
	v_add_f64 v[100:101], v[178:179], v[82:83]
	v_add_f64 v[164:165], v[180:181], v[184:185]
	v_add_f64 v[50:51], v[152:153], -v[66:67]
	v_fma_f64 v[152:153], v[54:55], -0.5, v[80:81]
	v_add_f64 v[166:167], v[160:161], v[86:87]
	v_add_f64 v[168:169], v[160:161], -v[86:87]
	v_add_f64 v[52:53], v[58:59], v[62:63]
	v_add_f64 v[54:55], v[60:61], v[68:69]
	v_add_f64 v[56:57], v[58:59], -v[62:63]
	v_add_f64 v[58:59], v[60:61], -v[68:69]
	v_add_f64 v[60:61], v[150:151], v[72:73]
	v_add_f64 v[170:171], v[32:33], v[178:179]
	v_add_f64 v[64:65], v[150:151], -v[72:73]
	v_fma_f64 v[150:151], v[154:155], s[4:5], v[108:109]
	v_fma_f64 v[172:173], v[70:71], -0.5, v[104:105]
	v_fma_f64 v[108:109], v[154:155], s[6:7], v[108:109]
	v_add_f64 v[62:63], v[158:159], v[94:95]
	v_add_f64 v[66:67], v[158:159], -v[94:95]
	v_add_f64 v[68:69], v[110:111], v[148:149]
	v_add_f64 v[94:95], v[90:91], v[162:163]
	;; [unrolled: 1-line block ×4, first 2 shown]
	v_add_f64 v[72:73], v[110:111], -v[148:149]
	v_add_f64 v[74:75], v[102:103], -v[156:157]
	v_fma_f64 v[32:33], v[100:101], -0.5, v[32:33]
	v_add_f64 v[110:111], v[88:89], -v[92:93]
	v_fma_f64 v[100:101], v[166:167], -0.5, v[98:99]
	v_fma_f64 v[102:103], v[168:169], s[4:5], v[152:153]
	v_fma_f64 v[148:149], v[164:165], -0.5, v[34:35]
	v_add_f64 v[34:35], v[34:35], v[180:181]
	v_fma_f64 v[152:153], v[168:169], s[6:7], v[152:153]
	v_add_f64 v[78:79], v[104:105], v[78:79]
	v_add_f64 v[104:105], v[106:107], v[182:183]
	;; [unrolled: 1-line block ×3, first 2 shown]
	v_add_f64 v[154:155], v[180:181], -v[184:185]
	v_add_f64 v[82:83], v[178:179], -v[82:83]
	v_mul_f64 v[156:157], v[150:151], s[6:7]
	v_fma_f64 v[164:165], v[174:175], s[6:7], v[172:173]
	v_mul_f64 v[150:151], v[150:151], 0.5
	v_fma_f64 v[166:167], v[174:175], s[4:5], v[172:173]
	v_mul_f64 v[168:169], v[108:109], s[6:7]
	v_mul_f64 v[108:109], v[108:109], -0.5
	v_fma_f64 v[94:95], v[94:95], -0.5, v[144:145]
	v_fma_f64 v[158:159], v[158:159], -0.5, v[146:147]
	v_add_f64 v[144:145], v[144:145], v[90:91]
	v_add_f64 v[146:147], v[146:147], v[96:97]
	;; [unrolled: 1-line block ×4, first 2 shown]
	v_fma_f64 v[160:161], v[110:111], s[6:7], v[100:101]
	v_mul_f64 v[88:89], v[102:103], s[6:7]
	v_mul_f64 v[102:103], v[102:103], 0.5
	v_add_f64 v[96:97], v[96:97], -v[84:85]
	v_add_f64 v[90:91], v[90:91], -v[162:163]
	v_add_f64 v[170:171], v[34:35], v[184:185]
	v_fma_f64 v[34:35], v[110:111], s[4:5], v[100:101]
	v_mul_f64 v[100:101], v[152:153], s[6:7]
	v_mul_f64 v[110:111], v[152:153], -0.5
	v_add_f64 v[78:79], v[78:79], v[186:187]
	v_add_f64 v[104:105], v[104:105], v[76:77]
	v_fma_f64 v[152:153], v[164:165], 0.5, v[156:157]
	v_fma_f64 v[150:151], v[164:165], s[4:5], v[150:151]
	v_fma_f64 v[156:157], v[154:155], s[6:7], v[32:33]
	;; [unrolled: 1-line block ×5, first 2 shown]
	v_fma_f64 v[168:169], v[166:167], -0.5, v[168:169]
	v_fma_f64 v[108:109], v[166:167], s[4:5], v[108:109]
	v_add_f64 v[144:145], v[144:145], v[162:163]
	v_add_f64 v[146:147], v[146:147], v[84:85]
	;; [unrolled: 1-line block ×4, first 2 shown]
	v_fma_f64 v[172:173], v[160:161], 0.5, v[88:89]
	v_fma_f64 v[160:161], v[160:161], s[4:5], v[102:103]
	v_fma_f64 v[174:175], v[96:97], s[6:7], v[94:95]
	;; [unrolled: 1-line block ×5, first 2 shown]
	v_fma_f64 v[180:181], v[34:35], -0.5, v[100:101]
	v_fma_f64 v[182:183], v[34:35], s[4:5], v[110:111]
	v_add_f64 v[32:33], v[106:107], v[78:79]
	v_add_f64 v[34:35], v[170:171], v[104:105]
	v_add_f64 v[76:77], v[106:107], -v[78:79]
	v_add_f64 v[78:79], v[170:171], -v[104:105]
	v_add_f64 v[80:81], v[156:157], v[152:153]
	v_add_f64 v[82:83], v[164:165], v[150:151]
	v_add_f64 v[84:85], v[156:157], -v[152:153]
	v_add_f64 v[86:87], v[164:165], -v[150:151]
	;; [unrolled: 4-line block ×6, first 2 shown]
	ds_write_b128 v130, v[0:3]
	ds_write_b128 v130, v[12:15] offset:8640
	ds_write_b128 v130, v[20:23] offset:17280
	ds_write_b128 v130, v[4:7] offset:25920
	ds_write_b128 v130, v[16:19] offset:34560
	ds_write_b128 v130, v[24:27] offset:43200
	ds_write_b128 v139, v[28:31]
	ds_write_b128 v139, v[36:39] offset:8640
	ds_write_b128 v139, v[44:47] offset:17280
	ds_write_b128 v139, v[8:11] offset:25920
	ds_write_b128 v139, v[40:43] offset:34560
	ds_write_b128 v139, v[48:51] offset:43200
	ds_write_b128 v138, v[52:55]
	ds_write_b128 v138, v[60:63] offset:8640
	ds_write_b128 v138, v[68:71] offset:17280
	ds_write_b128 v138, v[56:59] offset:25920
	ds_write_b128 v138, v[64:67] offset:34560
	ds_write_b128 v138, v[72:75] offset:43200
	ds_write_b128 v137, v[32:35]
	ds_write_b128 v137, v[80:83] offset:8640
	ds_write_b128 v137, v[88:91] offset:17280
	ds_write_b128 v137, v[76:79] offset:25920
	ds_write_b128 v137, v[84:87] offset:34560
	ds_write_b128 v137, v[92:95] offset:43200
	ds_write_b128 v136, v[96:99]
	ds_write_b128 v136, v[104:107] offset:8640
	ds_write_b128 v136, v[144:147] offset:17280
	ds_write_b128 v136, v[100:103] offset:25920
	ds_write_b128 v136, v[108:111] offset:34560
	ds_write_b128 v136, v[148:151] offset:43200
	s_waitcnt lgkmcnt(0)
	s_barrier
	buffer_gl0_inv
	ds_read_b128 v[4:7], v130
	v_sub_nc_u32_e32 v10, 0, v113
	s_addc_u32 s4, s13, 0
	s_mov_b32 s5, exec_lo
                                        ; implicit-def: $vgpr2_vgpr3
                                        ; implicit-def: $vgpr8_vgpr9
	v_cmpx_ne_u32_e32 0, v112
	s_xor_b32 s5, exec_lo, s5
	s_cbranch_execz .LBB0_15
; %bb.14:
	v_mov_b32_e32 v113, v129
	v_lshlrev_b64 v[0:1], 4, v[112:113]
	v_add_co_u32 v0, s0, s1, v0
	v_add_co_ci_u32_e64 v1, s0, s4, v1, s0
	global_load_dwordx4 v[11:14], v[0:1], off
	ds_read_b128 v[0:3], v10 offset:51840
	s_waitcnt lgkmcnt(0)
	v_add_f64 v[8:9], v[4:5], -v[0:1]
	v_add_f64 v[15:16], v[6:7], v[2:3]
	v_add_f64 v[2:3], v[6:7], -v[2:3]
	v_add_f64 v[0:1], v[4:5], v[0:1]
	v_mul_f64 v[6:7], v[8:9], 0.5
	v_mul_f64 v[4:5], v[15:16], 0.5
	;; [unrolled: 1-line block ×3, first 2 shown]
	s_waitcnt vmcnt(0)
	v_mul_f64 v[8:9], v[6:7], v[13:14]
	v_fma_f64 v[15:16], v[4:5], v[13:14], v[2:3]
	v_fma_f64 v[2:3], v[4:5], v[13:14], -v[2:3]
	v_fma_f64 v[17:18], v[0:1], 0.5, v[8:9]
	v_fma_f64 v[0:1], v[0:1], 0.5, -v[8:9]
	v_fma_f64 v[8:9], -v[11:12], v[6:7], v[15:16]
	v_fma_f64 v[2:3], -v[11:12], v[6:7], v[2:3]
	v_fma_f64 v[13:14], v[4:5], v[11:12], v[17:18]
	v_fma_f64 v[0:1], -v[4:5], v[11:12], v[0:1]
                                        ; implicit-def: $vgpr4_vgpr5
	ds_write_b64 v130, v[13:14]
.LBB0_15:
	s_or_saveexec_b32 s0, s5
	v_sub_nc_u32_e32 v15, 0, v141
	v_sub_nc_u32_e32 v14, 0, v142
	;; [unrolled: 1-line block ×5, first 2 shown]
	s_xor_b32 exec_lo, exec_lo, s0
	s_cbranch_execz .LBB0_17
; %bb.16:
	v_mov_b32_e32 v20, 0
	s_waitcnt lgkmcnt(0)
	v_add_f64 v[18:19], v[4:5], v[6:7]
	v_add_f64 v[0:1], v[4:5], -v[6:7]
	v_mov_b32_e32 v8, 0
	v_mov_b32_e32 v9, 0
	ds_read_b64 v[16:17], v20 offset:25928
	v_mov_b32_e32 v2, v8
	v_mov_b32_e32 v3, v9
	s_waitcnt lgkmcnt(0)
	v_xor_b32_e32 v17, 0x80000000, v17
	ds_write_b64 v130, v[18:19]
	ds_write_b64 v20, v[16:17] offset:25928
.LBB0_17:
	s_or_b32 exec_lo, exec_lo, s0
	v_mov_b32_e32 v117, 0
	ds_write_b64 v130, v[8:9] offset:8
	ds_write_b128 v10, v[0:3] offset:51840
	v_add_nc_u32_e32 v15, v131, v15
	v_add_nc_u32_e32 v13, v134, v13
	s_waitcnt lgkmcnt(2)
	v_lshlrev_b64 v[4:5], 4, v[116:117]
	v_mov_b32_e32 v128, v117
	v_add_nc_u32_e32 v116, 0x438, v112
	v_lshlrev_b64 v[16:17], 4, v[127:128]
	v_add_co_u32 v4, s0, s1, v4
	v_add_co_ci_u32_e64 v5, s0, s4, v5, s0
	v_mov_b32_e32 v127, v117
	v_add_co_u32 v16, s0, s1, v16
	global_load_dwordx4 v[4:7], v[4:5], off
	v_add_co_ci_u32_e64 v17, s0, s4, v17, s0
	v_lshlrev_b64 v[8:9], 4, v[126:127]
	v_mov_b32_e32 v126, v117
	global_load_dwordx4 v[16:19], v[16:17], off
	ds_read_b128 v[0:3], v139
	ds_read_b128 v[20:23], v10 offset:50112
	v_add_co_u32 v8, s0, s1, v8
	v_add_co_ci_u32_e64 v9, s0, s4, v9, s0
	global_load_dwordx4 v[24:27], v[8:9], off
	s_waitcnt lgkmcnt(0)
	v_add_f64 v[8:9], v[0:1], -v[20:21]
	v_add_f64 v[28:29], v[2:3], v[22:23]
	v_add_f64 v[2:3], v[2:3], -v[22:23]
	v_add_f64 v[0:1], v[0:1], v[20:21]
	v_mul_f64 v[8:9], v[8:9], 0.5
	v_mul_f64 v[22:23], v[28:29], 0.5
	;; [unrolled: 1-line block ×3, first 2 shown]
	s_waitcnt vmcnt(2)
	v_mul_f64 v[20:21], v[8:9], v[6:7]
	v_fma_f64 v[28:29], v[22:23], v[6:7], v[2:3]
	v_fma_f64 v[6:7], v[22:23], v[6:7], -v[2:3]
	v_fma_f64 v[30:31], v[0:1], 0.5, v[20:21]
	v_fma_f64 v[20:21], v[0:1], 0.5, -v[20:21]
	v_fma_f64 v[2:3], -v[4:5], v[8:9], v[28:29]
	v_fma_f64 v[6:7], -v[4:5], v[8:9], v[6:7]
	v_lshlrev_b64 v[8:9], 4, v[125:126]
	v_mov_b32_e32 v125, v117
	v_add_co_u32 v8, s0, s1, v8
	v_add_co_ci_u32_e64 v9, s0, s4, v9, s0
	v_fma_f64 v[0:1], v[22:23], v[4:5], v[30:31]
	v_fma_f64 v[4:5], -v[22:23], v[4:5], v[20:21]
	ds_write_b128 v139, v[0:3]
	ds_write_b128 v10, v[4:7] offset:50112
	ds_read_b128 v[0:3], v138
	ds_read_b128 v[4:7], v10 offset:48384
	global_load_dwordx4 v[20:23], v[8:9], off
	s_waitcnt lgkmcnt(0)
	v_add_f64 v[8:9], v[0:1], -v[4:5]
	v_add_f64 v[28:29], v[2:3], v[6:7]
	v_add_f64 v[2:3], v[2:3], -v[6:7]
	v_add_f64 v[0:1], v[0:1], v[4:5]
	v_mul_f64 v[6:7], v[8:9], 0.5
	v_mul_f64 v[8:9], v[28:29], 0.5
	v_mul_f64 v[2:3], v[2:3], 0.5
	s_waitcnt vmcnt(2)
	v_mul_f64 v[4:5], v[6:7], v[18:19]
	v_fma_f64 v[28:29], v[8:9], v[18:19], v[2:3]
	v_fma_f64 v[18:19], v[8:9], v[18:19], -v[2:3]
	v_fma_f64 v[30:31], v[0:1], 0.5, v[4:5]
	v_fma_f64 v[4:5], v[0:1], 0.5, -v[4:5]
	v_fma_f64 v[2:3], -v[16:17], v[6:7], v[28:29]
	v_fma_f64 v[6:7], -v[16:17], v[6:7], v[18:19]
	v_fma_f64 v[0:1], v[8:9], v[16:17], v[30:31]
	v_fma_f64 v[4:5], -v[8:9], v[16:17], v[4:5]
	v_lshlrev_b64 v[8:9], 4, v[124:125]
	v_mov_b32_e32 v124, v117
	ds_write_b128 v138, v[0:3]
	ds_write_b128 v10, v[4:7] offset:48384
	v_add_co_u32 v8, s0, s1, v8
	ds_read_b128 v[0:3], v137
	ds_read_b128 v[4:7], v10 offset:46656
	v_add_co_ci_u32_e64 v9, s0, s4, v9, s0
	global_load_dwordx4 v[16:19], v[8:9], off
	s_waitcnt lgkmcnt(0)
	v_add_f64 v[8:9], v[0:1], -v[4:5]
	v_add_f64 v[28:29], v[2:3], v[6:7]
	v_add_f64 v[2:3], v[2:3], -v[6:7]
	v_add_f64 v[0:1], v[0:1], v[4:5]
	v_mul_f64 v[6:7], v[8:9], 0.5
	v_mul_f64 v[8:9], v[28:29], 0.5
	v_mul_f64 v[2:3], v[2:3], 0.5
	s_waitcnt vmcnt(2)
	v_mul_f64 v[4:5], v[6:7], v[26:27]
	v_fma_f64 v[28:29], v[8:9], v[26:27], v[2:3]
	v_fma_f64 v[26:27], v[8:9], v[26:27], -v[2:3]
	v_fma_f64 v[30:31], v[0:1], 0.5, v[4:5]
	v_fma_f64 v[4:5], v[0:1], 0.5, -v[4:5]
	v_fma_f64 v[2:3], -v[24:25], v[6:7], v[28:29]
	v_fma_f64 v[6:7], -v[24:25], v[6:7], v[26:27]
	v_fma_f64 v[0:1], v[8:9], v[24:25], v[30:31]
	v_fma_f64 v[4:5], -v[8:9], v[24:25], v[4:5]
	v_lshlrev_b64 v[8:9], 4, v[123:124]
	v_mov_b32_e32 v123, v117
	ds_write_b128 v137, v[0:3]
	ds_write_b128 v10, v[4:7] offset:46656
	v_add_co_u32 v8, s0, s1, v8
	ds_read_b128 v[0:3], v136
	ds_read_b128 v[4:7], v10 offset:44928
	v_add_co_ci_u32_e64 v9, s0, s4, v9, s0
	;; [unrolled: 27-line block ×3, first 2 shown]
	global_load_dwordx4 v[20:23], v[8:9], off
	s_waitcnt lgkmcnt(0)
	v_add_f64 v[8:9], v[0:1], -v[4:5]
	v_add_f64 v[28:29], v[2:3], v[6:7]
	v_add_f64 v[2:3], v[2:3], -v[6:7]
	v_add_f64 v[0:1], v[0:1], v[4:5]
	v_mul_f64 v[6:7], v[8:9], 0.5
	v_mul_f64 v[8:9], v[28:29], 0.5
	;; [unrolled: 1-line block ×3, first 2 shown]
	s_waitcnt vmcnt(2)
	v_mul_f64 v[4:5], v[6:7], v[18:19]
	v_fma_f64 v[28:29], v[8:9], v[18:19], v[2:3]
	v_fma_f64 v[18:19], v[8:9], v[18:19], -v[2:3]
	v_fma_f64 v[30:31], v[0:1], 0.5, v[4:5]
	v_fma_f64 v[4:5], v[0:1], 0.5, -v[4:5]
	v_fma_f64 v[2:3], -v[16:17], v[6:7], v[28:29]
	v_fma_f64 v[6:7], -v[16:17], v[6:7], v[18:19]
	v_fma_f64 v[0:1], v[8:9], v[16:17], v[30:31]
	v_fma_f64 v[4:5], -v[8:9], v[16:17], v[4:5]
	v_lshlrev_b64 v[8:9], 4, v[121:122]
	v_add_nc_u32_e32 v30, v135, v14
	v_mov_b32_e32 v121, v117
	ds_write_b128 v15, v[0:3]
	ds_write_b128 v10, v[4:7] offset:43200
	v_add_co_u32 v8, s0, s1, v8
	ds_read_b128 v[0:3], v30
	ds_read_b128 v[4:7], v10 offset:41472
	v_add_co_ci_u32_e64 v9, s0, s4, v9, s0
	global_load_dwordx4 v[14:17], v[8:9], off
	s_waitcnt lgkmcnt(0)
	v_add_f64 v[8:9], v[0:1], -v[4:5]
	v_add_f64 v[18:19], v[2:3], v[6:7]
	v_add_f64 v[2:3], v[2:3], -v[6:7]
	v_add_f64 v[0:1], v[0:1], v[4:5]
	v_mul_f64 v[6:7], v[8:9], 0.5
	v_mul_f64 v[8:9], v[18:19], 0.5
	;; [unrolled: 1-line block ×3, first 2 shown]
	s_waitcnt vmcnt(2)
	v_mul_f64 v[4:5], v[6:7], v[26:27]
	v_fma_f64 v[18:19], v[8:9], v[26:27], v[2:3]
	v_fma_f64 v[26:27], v[8:9], v[26:27], -v[2:3]
	v_fma_f64 v[28:29], v[0:1], 0.5, v[4:5]
	v_fma_f64 v[4:5], v[0:1], 0.5, -v[4:5]
	v_fma_f64 v[2:3], -v[24:25], v[6:7], v[18:19]
	v_fma_f64 v[6:7], -v[24:25], v[6:7], v[26:27]
	v_fma_f64 v[0:1], v[8:9], v[24:25], v[28:29]
	v_fma_f64 v[4:5], -v[8:9], v[24:25], v[4:5]
	v_lshlrev_b64 v[8:9], 4, v[120:121]
	ds_write_b128 v30, v[0:3]
	ds_write_b128 v10, v[4:7] offset:41472
	v_add_co_u32 v8, s0, s1, v8
	ds_read_b128 v[0:3], v13
	ds_read_b128 v[4:7], v10 offset:39744
	v_add_co_ci_u32_e64 v9, s0, s4, v9, s0
	global_load_dwordx4 v[24:27], v[8:9], off
	s_waitcnt lgkmcnt(0)
	v_add_f64 v[8:9], v[0:1], -v[4:5]
	v_add_f64 v[18:19], v[2:3], v[6:7]
	v_add_f64 v[2:3], v[2:3], -v[6:7]
	v_add_f64 v[0:1], v[0:1], v[4:5]
	v_mul_f64 v[6:7], v[8:9], 0.5
	v_mul_f64 v[8:9], v[18:19], 0.5
	v_mul_f64 v[2:3], v[2:3], 0.5
	s_waitcnt vmcnt(2)
	v_mul_f64 v[4:5], v[6:7], v[22:23]
	v_fma_f64 v[18:19], v[8:9], v[22:23], v[2:3]
	v_fma_f64 v[22:23], v[8:9], v[22:23], -v[2:3]
	v_fma_f64 v[28:29], v[0:1], 0.5, v[4:5]
	v_fma_f64 v[4:5], v[0:1], 0.5, -v[4:5]
	v_fma_f64 v[2:3], -v[20:21], v[6:7], v[18:19]
	v_fma_f64 v[6:7], -v[20:21], v[6:7], v[22:23]
	v_fma_f64 v[0:1], v[8:9], v[20:21], v[28:29]
	v_fma_f64 v[4:5], -v[8:9], v[20:21], v[4:5]
	v_lshlrev_b64 v[8:9], 4, v[116:117]
	v_add_nc_u32_e32 v28, v133, v12
	v_add_nc_u32_e32 v116, 0x4a4, v112
	ds_write_b128 v13, v[0:3]
	ds_write_b128 v10, v[4:7] offset:39744
	v_add_co_u32 v8, s0, s1, v8
	ds_read_b128 v[0:3], v28
	ds_read_b128 v[4:7], v10 offset:38016
	v_add_co_ci_u32_e64 v9, s0, s4, v9, s0
	global_load_dwordx4 v[18:21], v[8:9], off
	s_waitcnt lgkmcnt(0)
	v_add_f64 v[8:9], v[0:1], -v[4:5]
	v_add_f64 v[12:13], v[2:3], v[6:7]
	v_add_f64 v[2:3], v[2:3], -v[6:7]
	v_add_f64 v[0:1], v[0:1], v[4:5]
	v_mul_f64 v[6:7], v[8:9], 0.5
	v_mul_f64 v[8:9], v[12:13], 0.5
	v_mul_f64 v[2:3], v[2:3], 0.5
	s_waitcnt vmcnt(2)
	v_mul_f64 v[4:5], v[6:7], v[16:17]
	v_fma_f64 v[12:13], v[8:9], v[16:17], v[2:3]
	v_fma_f64 v[16:17], v[8:9], v[16:17], -v[2:3]
	v_fma_f64 v[22:23], v[0:1], 0.5, v[4:5]
	v_fma_f64 v[4:5], v[0:1], 0.5, -v[4:5]
	v_fma_f64 v[2:3], -v[14:15], v[6:7], v[12:13]
	v_fma_f64 v[6:7], -v[14:15], v[6:7], v[16:17]
	v_add_nc_u32_e32 v17, v132, v11
	v_fma_f64 v[0:1], v[8:9], v[14:15], v[22:23]
	v_fma_f64 v[4:5], -v[8:9], v[14:15], v[4:5]
	v_lshlrev_b64 v[8:9], 4, v[116:117]
	v_add_nc_u32_e32 v116, 0x510, v112
	ds_write_b128 v28, v[0:3]
	ds_write_b128 v10, v[4:7] offset:38016
	v_add_co_u32 v8, s0, s1, v8
	ds_read_b128 v[0:3], v17
	ds_read_b128 v[4:7], v10 offset:36288
	v_add_co_ci_u32_e64 v9, s0, s4, v9, s0
	global_load_dwordx4 v[11:14], v[8:9], off
	s_waitcnt lgkmcnt(0)
	v_add_f64 v[8:9], v[0:1], -v[4:5]
	v_add_f64 v[15:16], v[2:3], v[6:7]
	v_add_f64 v[2:3], v[2:3], -v[6:7]
	v_add_f64 v[0:1], v[0:1], v[4:5]
	v_mul_f64 v[6:7], v[8:9], 0.5
	v_mul_f64 v[8:9], v[15:16], 0.5
	;; [unrolled: 1-line block ×3, first 2 shown]
	s_waitcnt vmcnt(2)
	v_mul_f64 v[4:5], v[6:7], v[26:27]
	v_fma_f64 v[15:16], v[8:9], v[26:27], v[2:3]
	v_fma_f64 v[22:23], v[8:9], v[26:27], -v[2:3]
	v_fma_f64 v[26:27], v[0:1], 0.5, v[4:5]
	v_fma_f64 v[4:5], v[0:1], 0.5, -v[4:5]
	v_fma_f64 v[2:3], -v[24:25], v[6:7], v[15:16]
	v_fma_f64 v[6:7], -v[24:25], v[6:7], v[22:23]
	v_fma_f64 v[0:1], v[8:9], v[24:25], v[26:27]
	v_fma_f64 v[4:5], -v[8:9], v[24:25], v[4:5]
	v_lshlrev_b64 v[8:9], 4, v[116:117]
	v_add_nc_u32_e32 v116, 0x57c, v112
	ds_write_b128 v17, v[0:3]
	ds_write_b128 v10, v[4:7] offset:36288
	v_add_co_u32 v8, s0, s1, v8
	ds_read_b128 v[0:3], v130 offset:17280
	ds_read_b128 v[4:7], v10 offset:34560
	v_add_co_ci_u32_e64 v9, s0, s4, v9, s0
	global_load_dwordx4 v[22:25], v[8:9], off
	s_waitcnt lgkmcnt(0)
	v_add_f64 v[8:9], v[0:1], -v[4:5]
	v_add_f64 v[15:16], v[2:3], v[6:7]
	v_add_f64 v[2:3], v[2:3], -v[6:7]
	v_add_f64 v[0:1], v[0:1], v[4:5]
	v_mul_f64 v[6:7], v[8:9], 0.5
	v_mul_f64 v[8:9], v[15:16], 0.5
	;; [unrolled: 1-line block ×3, first 2 shown]
	s_waitcnt vmcnt(2)
	v_mul_f64 v[4:5], v[6:7], v[20:21]
	v_fma_f64 v[15:16], v[8:9], v[20:21], v[2:3]
	v_fma_f64 v[20:21], v[8:9], v[20:21], -v[2:3]
	v_fma_f64 v[26:27], v[0:1], 0.5, v[4:5]
	v_fma_f64 v[4:5], v[0:1], 0.5, -v[4:5]
	v_fma_f64 v[2:3], -v[18:19], v[6:7], v[15:16]
	v_fma_f64 v[6:7], -v[18:19], v[6:7], v[20:21]
	v_fma_f64 v[0:1], v[8:9], v[18:19], v[26:27]
	v_fma_f64 v[4:5], -v[8:9], v[18:19], v[4:5]
	v_lshlrev_b64 v[8:9], 4, v[116:117]
	v_add_nc_u32_e32 v116, 0x5e8, v112
	ds_write_b128 v130, v[0:3] offset:17280
	ds_write_b128 v10, v[4:7] offset:34560
	v_add_co_u32 v8, s0, s1, v8
	ds_read_b128 v[0:3], v130 offset:19008
	ds_read_b128 v[4:7], v10 offset:32832
	v_add_co_ci_u32_e64 v9, s0, s4, v9, s0
	global_load_dwordx4 v[15:18], v[8:9], off
	s_waitcnt lgkmcnt(0)
	v_add_f64 v[8:9], v[0:1], -v[4:5]
	v_add_f64 v[19:20], v[2:3], v[6:7]
	v_add_f64 v[2:3], v[2:3], -v[6:7]
	v_add_f64 v[0:1], v[0:1], v[4:5]
	v_mul_f64 v[6:7], v[8:9], 0.5
	v_mul_f64 v[8:9], v[19:20], 0.5
	;; [unrolled: 1-line block ×3, first 2 shown]
	s_waitcnt vmcnt(2)
	v_mul_f64 v[4:5], v[6:7], v[13:14]
	v_fma_f64 v[19:20], v[8:9], v[13:14], v[2:3]
	v_fma_f64 v[13:14], v[8:9], v[13:14], -v[2:3]
	v_fma_f64 v[26:27], v[0:1], 0.5, v[4:5]
	v_fma_f64 v[4:5], v[0:1], 0.5, -v[4:5]
	v_fma_f64 v[2:3], -v[11:12], v[6:7], v[19:20]
	v_fma_f64 v[6:7], -v[11:12], v[6:7], v[13:14]
	v_fma_f64 v[0:1], v[8:9], v[11:12], v[26:27]
	v_fma_f64 v[4:5], -v[8:9], v[11:12], v[4:5]
	v_lshlrev_b64 v[8:9], 4, v[116:117]
	ds_write_b128 v130, v[0:3] offset:19008
	ds_write_b128 v10, v[4:7] offset:32832
	v_add_co_u32 v8, s0, s1, v8
	ds_read_b128 v[0:3], v130 offset:20736
	ds_read_b128 v[4:7], v10 offset:31104
	v_add_co_ci_u32_e64 v9, s0, s4, v9, s0
	global_load_dwordx4 v[11:14], v[8:9], off
	s_waitcnt lgkmcnt(0)
	v_add_f64 v[8:9], v[0:1], -v[4:5]
	v_add_f64 v[19:20], v[2:3], v[6:7]
	v_add_f64 v[2:3], v[2:3], -v[6:7]
	v_add_f64 v[0:1], v[0:1], v[4:5]
	v_mul_f64 v[6:7], v[8:9], 0.5
	v_mul_f64 v[8:9], v[19:20], 0.5
	;; [unrolled: 1-line block ×3, first 2 shown]
	s_waitcnt vmcnt(2)
	v_mul_f64 v[4:5], v[6:7], v[24:25]
	v_fma_f64 v[19:20], v[8:9], v[24:25], v[2:3]
	v_fma_f64 v[24:25], v[8:9], v[24:25], -v[2:3]
	v_fma_f64 v[26:27], v[0:1], 0.5, v[4:5]
	v_fma_f64 v[4:5], v[0:1], 0.5, -v[4:5]
	v_fma_f64 v[2:3], -v[22:23], v[6:7], v[19:20]
	v_fma_f64 v[6:7], -v[22:23], v[6:7], v[24:25]
	v_fma_f64 v[0:1], v[8:9], v[22:23], v[26:27]
	v_fma_f64 v[4:5], -v[8:9], v[22:23], v[4:5]
	ds_write_b128 v130, v[0:3] offset:20736
	ds_write_b128 v10, v[4:7] offset:31104
	ds_read_b128 v[0:3], v130 offset:22464
	ds_read_b128 v[4:7], v10 offset:29376
	s_waitcnt lgkmcnt(0)
	v_add_f64 v[8:9], v[0:1], -v[4:5]
	v_add_f64 v[19:20], v[2:3], v[6:7]
	v_add_f64 v[2:3], v[2:3], -v[6:7]
	v_add_f64 v[0:1], v[0:1], v[4:5]
	v_mul_f64 v[6:7], v[8:9], 0.5
	v_mul_f64 v[8:9], v[19:20], 0.5
	;; [unrolled: 1-line block ×3, first 2 shown]
	s_waitcnt vmcnt(1)
	v_mul_f64 v[4:5], v[6:7], v[17:18]
	v_fma_f64 v[19:20], v[8:9], v[17:18], v[2:3]
	v_fma_f64 v[17:18], v[8:9], v[17:18], -v[2:3]
	v_fma_f64 v[21:22], v[0:1], 0.5, v[4:5]
	v_fma_f64 v[4:5], v[0:1], 0.5, -v[4:5]
	v_fma_f64 v[2:3], -v[15:16], v[6:7], v[19:20]
	v_fma_f64 v[6:7], -v[15:16], v[6:7], v[17:18]
	v_fma_f64 v[0:1], v[8:9], v[15:16], v[21:22]
	v_fma_f64 v[4:5], -v[8:9], v[15:16], v[4:5]
	ds_write_b128 v130, v[0:3] offset:22464
	ds_write_b128 v10, v[4:7] offset:29376
	ds_read_b128 v[0:3], v130 offset:24192
	ds_read_b128 v[4:7], v10 offset:27648
	s_waitcnt lgkmcnt(0)
	v_add_f64 v[8:9], v[0:1], -v[4:5]
	v_add_f64 v[15:16], v[2:3], v[6:7]
	v_add_f64 v[2:3], v[2:3], -v[6:7]
	v_add_f64 v[0:1], v[0:1], v[4:5]
	v_mul_f64 v[6:7], v[8:9], 0.5
	v_mul_f64 v[8:9], v[15:16], 0.5
	;; [unrolled: 1-line block ×3, first 2 shown]
	s_waitcnt vmcnt(0)
	v_mul_f64 v[4:5], v[6:7], v[13:14]
	v_fma_f64 v[15:16], v[8:9], v[13:14], v[2:3]
	v_fma_f64 v[13:14], v[8:9], v[13:14], -v[2:3]
	v_fma_f64 v[17:18], v[0:1], 0.5, v[4:5]
	v_fma_f64 v[4:5], v[0:1], 0.5, -v[4:5]
	v_fma_f64 v[2:3], -v[11:12], v[6:7], v[15:16]
	v_fma_f64 v[6:7], -v[11:12], v[6:7], v[13:14]
	v_fma_f64 v[0:1], v[8:9], v[11:12], v[17:18]
	v_fma_f64 v[4:5], -v[8:9], v[11:12], v[4:5]
	ds_write_b128 v130, v[0:3] offset:24192
	ds_write_b128 v10, v[4:7] offset:27648
	s_waitcnt lgkmcnt(0)
	s_barrier
	buffer_gl0_inv
	s_and_saveexec_b32 s0, vcc_lo
	s_cbranch_execz .LBB0_20
; %bb.18:
	v_mul_lo_u32 v2, s3, v118
	v_mul_lo_u32 v3, s2, v119
	v_mad_u64_u32 v[0:1], null, s2, v118, 0
	v_lshl_add_u32 v26, v112, 4, 0
	v_mov_b32_e32 v113, v117
	v_lshlrev_b64 v[10:11], 4, v[114:115]
	v_add_nc_u32_e32 v116, 0x6c, v112
	ds_read_b128 v[6:9], v26 offset:1728
	v_add3_u32 v1, v1, v3, v2
	ds_read_b128 v[2:5], v26
	v_lshlrev_b64 v[12:13], 4, v[112:113]
	v_lshlrev_b64 v[14:15], 4, v[116:117]
	v_add_nc_u32_e32 v116, 0xd8, v112
	v_lshlrev_b64 v[0:1], 4, v[0:1]
	v_lshlrev_b64 v[18:19], 4, v[116:117]
	v_add_nc_u32_e32 v116, 0x144, v112
	v_add_co_u32 v0, vcc_lo, s10, v0
	v_add_co_ci_u32_e32 v1, vcc_lo, s11, v1, vcc_lo
	v_lshlrev_b64 v[20:21], 4, v[116:117]
	v_add_co_u32 v0, vcc_lo, v0, v10
	v_add_co_ci_u32_e32 v1, vcc_lo, v1, v11, vcc_lo
	v_add_nc_u32_e32 v116, 0x1b0, v112
	v_add_co_u32 v16, vcc_lo, v0, v12
	v_add_co_ci_u32_e32 v17, vcc_lo, v1, v13, vcc_lo
	ds_read_b128 v[10:13], v26 offset:50112
	v_add_co_u32 v14, vcc_lo, v0, v14
	v_add_co_ci_u32_e32 v15, vcc_lo, v1, v15, vcc_lo
	s_waitcnt lgkmcnt(1)
	global_store_dwordx4 v[16:17], v[2:5], off
	ds_read_b128 v[2:5], v26 offset:3456
	v_add_co_u32 v18, vcc_lo, v0, v18
	global_store_dwordx4 v[14:15], v[6:9], off
	ds_read_b128 v[6:9], v26 offset:5184
	ds_read_b128 v[14:17], v26 offset:6912
	v_lshlrev_b64 v[22:23], 4, v[116:117]
	v_add_co_ci_u32_e32 v19, vcc_lo, v1, v19, vcc_lo
	v_add_co_u32 v20, vcc_lo, v0, v20
	v_add_co_ci_u32_e32 v21, vcc_lo, v1, v21, vcc_lo
	v_add_nc_u32_e32 v116, 0x21c, v112
	v_add_co_u32 v22, vcc_lo, v0, v22
	v_add_co_ci_u32_e32 v23, vcc_lo, v1, v23, vcc_lo
	s_waitcnt lgkmcnt(2)
	global_store_dwordx4 v[18:19], v[2:5], off
	v_lshlrev_b64 v[18:19], 4, v[116:117]
	v_add_nc_u32_e32 v116, 0x288, v112
	s_waitcnt lgkmcnt(1)
	global_store_dwordx4 v[20:21], v[6:9], off
	s_waitcnt lgkmcnt(0)
	global_store_dwordx4 v[22:23], v[14:17], off
	ds_read_b128 v[2:5], v26 offset:8640
	ds_read_b128 v[6:9], v26 offset:10368
	;; [unrolled: 1-line block ×3, first 2 shown]
	v_lshlrev_b64 v[20:21], 4, v[116:117]
	v_add_nc_u32_e32 v116, 0x2f4, v112
	v_add_co_u32 v18, vcc_lo, v0, v18
	v_add_co_ci_u32_e32 v19, vcc_lo, v1, v19, vcc_lo
	v_lshlrev_b64 v[22:23], 4, v[116:117]
	v_add_co_u32 v20, vcc_lo, v0, v20
	v_add_co_ci_u32_e32 v21, vcc_lo, v1, v21, vcc_lo
	v_add_nc_u32_e32 v116, 0x360, v112
	v_add_co_u32 v22, vcc_lo, v0, v22
	v_add_co_ci_u32_e32 v23, vcc_lo, v1, v23, vcc_lo
	v_lshlrev_b64 v[24:25], 4, v[116:117]
	v_add_nc_u32_e32 v116, 0x3cc, v112
	s_waitcnt lgkmcnt(2)
	global_store_dwordx4 v[18:19], v[2:5], off
	s_waitcnt lgkmcnt(1)
	global_store_dwordx4 v[20:21], v[6:9], off
	;; [unrolled: 2-line block ×3, first 2 shown]
	ds_read_b128 v[2:5], v26 offset:13824
	ds_read_b128 v[6:9], v26 offset:15552
	;; [unrolled: 1-line block ×3, first 2 shown]
	v_lshlrev_b64 v[18:19], 4, v[116:117]
	v_add_nc_u32_e32 v116, 0x438, v112
	v_add_co_u32 v20, vcc_lo, v0, v24
	v_add_co_ci_u32_e32 v21, vcc_lo, v1, v25, vcc_lo
	v_lshlrev_b64 v[22:23], 4, v[116:117]
	v_add_co_u32 v18, vcc_lo, v0, v18
	v_add_co_ci_u32_e32 v19, vcc_lo, v1, v19, vcc_lo
	v_add_nc_u32_e32 v116, 0x4a4, v112
	v_add_co_u32 v22, vcc_lo, v0, v22
	v_add_co_ci_u32_e32 v23, vcc_lo, v1, v23, vcc_lo
	s_waitcnt lgkmcnt(2)
	global_store_dwordx4 v[20:21], v[2:5], off
	v_lshlrev_b64 v[20:21], 4, v[116:117]
	v_add_nc_u32_e32 v116, 0x510, v112
	s_waitcnt lgkmcnt(1)
	global_store_dwordx4 v[18:19], v[6:9], off
	s_waitcnt lgkmcnt(0)
	global_store_dwordx4 v[22:23], v[14:17], off
	ds_read_b128 v[2:5], v26 offset:19008
	ds_read_b128 v[6:9], v26 offset:20736
	;; [unrolled: 1-line block ×3, first 2 shown]
	v_lshlrev_b64 v[18:19], 4, v[116:117]
	v_add_nc_u32_e32 v116, 0x57c, v112
	v_add_co_u32 v20, vcc_lo, v0, v20
	v_add_co_ci_u32_e32 v21, vcc_lo, v1, v21, vcc_lo
	v_lshlrev_b64 v[22:23], 4, v[116:117]
	v_add_co_u32 v18, vcc_lo, v0, v18
	v_add_co_ci_u32_e32 v19, vcc_lo, v1, v19, vcc_lo
	v_add_nc_u32_e32 v116, 0x5e8, v112
	v_add_co_u32 v22, vcc_lo, v0, v22
	v_add_co_ci_u32_e32 v23, vcc_lo, v1, v23, vcc_lo
	s_waitcnt lgkmcnt(2)
	global_store_dwordx4 v[20:21], v[2:5], off
	s_waitcnt lgkmcnt(1)
	global_store_dwordx4 v[18:19], v[6:9], off
	v_lshlrev_b64 v[24:25], 4, v[116:117]
	v_add_nc_u32_e32 v116, 0x654, v112
	ds_read_b128 v[2:5], v26 offset:24192
	s_waitcnt lgkmcnt(1)
	global_store_dwordx4 v[22:23], v[14:17], off
	ds_read_b128 v[6:9], v26 offset:25920
	ds_read_b128 v[14:17], v26 offset:27648
	v_lshlrev_b64 v[18:19], 4, v[116:117]
	v_add_nc_u32_e32 v116, 0x6c0, v112
	v_add_co_u32 v20, vcc_lo, v0, v24
	v_add_co_ci_u32_e32 v21, vcc_lo, v1, v25, vcc_lo
	v_lshlrev_b64 v[22:23], 4, v[116:117]
	v_add_co_u32 v18, vcc_lo, v0, v18
	v_add_co_ci_u32_e32 v19, vcc_lo, v1, v19, vcc_lo
	v_add_nc_u32_e32 v116, 0x72c, v112
	v_add_co_u32 v22, vcc_lo, v0, v22
	v_add_co_ci_u32_e32 v23, vcc_lo, v1, v23, vcc_lo
	s_waitcnt lgkmcnt(2)
	global_store_dwordx4 v[20:21], v[2:5], off
	v_lshlrev_b64 v[20:21], 4, v[116:117]
	v_add_nc_u32_e32 v116, 0x798, v112
	s_waitcnt lgkmcnt(1)
	global_store_dwordx4 v[18:19], v[6:9], off
	s_waitcnt lgkmcnt(0)
	global_store_dwordx4 v[22:23], v[14:17], off
	ds_read_b128 v[2:5], v26 offset:29376
	ds_read_b128 v[6:9], v26 offset:31104
	;; [unrolled: 1-line block ×3, first 2 shown]
	v_lshlrev_b64 v[18:19], 4, v[116:117]
	v_add_nc_u32_e32 v116, 0x804, v112
	v_add_co_u32 v20, vcc_lo, v0, v20
	v_add_co_ci_u32_e32 v21, vcc_lo, v1, v21, vcc_lo
	v_lshlrev_b64 v[22:23], 4, v[116:117]
	v_add_co_u32 v18, vcc_lo, v0, v18
	v_add_co_ci_u32_e32 v19, vcc_lo, v1, v19, vcc_lo
	v_add_nc_u32_e32 v116, 0x870, v112
	v_add_co_u32 v22, vcc_lo, v0, v22
	v_add_co_ci_u32_e32 v23, vcc_lo, v1, v23, vcc_lo
	v_lshlrev_b64 v[24:25], 4, v[116:117]
	v_add_nc_u32_e32 v116, 0x8dc, v112
	s_waitcnt lgkmcnt(2)
	global_store_dwordx4 v[20:21], v[2:5], off
	s_waitcnt lgkmcnt(1)
	global_store_dwordx4 v[18:19], v[6:9], off
	;; [unrolled: 2-line block ×3, first 2 shown]
	ds_read_b128 v[2:5], v26 offset:34560
	ds_read_b128 v[6:9], v26 offset:36288
	;; [unrolled: 1-line block ×3, first 2 shown]
	v_lshlrev_b64 v[18:19], 4, v[116:117]
	v_add_nc_u32_e32 v116, 0x948, v112
	v_add_co_u32 v20, vcc_lo, v0, v24
	v_add_co_ci_u32_e32 v21, vcc_lo, v1, v25, vcc_lo
	v_lshlrev_b64 v[22:23], 4, v[116:117]
	v_add_co_u32 v18, vcc_lo, v0, v18
	v_add_co_ci_u32_e32 v19, vcc_lo, v1, v19, vcc_lo
	v_add_nc_u32_e32 v116, 0x9b4, v112
	v_add_co_u32 v22, vcc_lo, v0, v22
	v_add_co_ci_u32_e32 v23, vcc_lo, v1, v23, vcc_lo
	s_waitcnt lgkmcnt(2)
	global_store_dwordx4 v[20:21], v[2:5], off
	s_waitcnt lgkmcnt(1)
	global_store_dwordx4 v[18:19], v[6:9], off
	;; [unrolled: 2-line block ×3, first 2 shown]
	v_lshlrev_b64 v[20:21], 4, v[116:117]
	v_add_nc_u32_e32 v116, 0xa20, v112
	ds_read_b128 v[2:5], v26 offset:39744
	ds_read_b128 v[6:9], v26 offset:41472
	;; [unrolled: 1-line block ×3, first 2 shown]
	v_lshlrev_b64 v[18:19], 4, v[116:117]
	v_add_nc_u32_e32 v116, 0xa8c, v112
	v_add_co_u32 v20, vcc_lo, v0, v20
	v_add_co_ci_u32_e32 v21, vcc_lo, v1, v21, vcc_lo
	v_lshlrev_b64 v[22:23], 4, v[116:117]
	v_add_nc_u32_e32 v116, 0xaf8, v112
	v_add_co_u32 v18, vcc_lo, v0, v18
	v_add_co_ci_u32_e32 v19, vcc_lo, v1, v19, vcc_lo
	;; [unrolled: 4-line block ×3, first 2 shown]
	s_waitcnt lgkmcnt(2)
	global_store_dwordx4 v[20:21], v[2:5], off
	s_waitcnt lgkmcnt(1)
	global_store_dwordx4 v[18:19], v[6:9], off
	v_lshlrev_b64 v[18:19], 4, v[116:117]
	v_add_nc_u32_e32 v116, 0xbd0, v112
	s_waitcnt lgkmcnt(0)
	global_store_dwordx4 v[22:23], v[14:17], off
	ds_read_b128 v[2:5], v26 offset:44928
	ds_read_b128 v[6:9], v26 offset:46656
	;; [unrolled: 1-line block ×3, first 2 shown]
	v_add_co_u32 v20, vcc_lo, v0, v24
	v_lshlrev_b64 v[22:23], 4, v[116:117]
	v_add_nc_u32_e32 v116, 0xc3c, v112
	v_add_co_ci_u32_e32 v21, vcc_lo, v1, v25, vcc_lo
	v_add_co_u32 v18, vcc_lo, v0, v18
	v_lshlrev_b64 v[24:25], 4, v[116:117]
	v_add_co_ci_u32_e32 v19, vcc_lo, v1, v19, vcc_lo
	v_add_co_u32 v22, vcc_lo, v0, v22
	v_add_co_ci_u32_e32 v23, vcc_lo, v1, v23, vcc_lo
	v_add_co_u32 v24, vcc_lo, v0, v24
	v_add_co_ci_u32_e32 v25, vcc_lo, v1, v25, vcc_lo
	v_cmp_eq_u32_e32 vcc_lo, 0x6b, v112
	s_waitcnt lgkmcnt(2)
	global_store_dwordx4 v[20:21], v[2:5], off
	s_waitcnt lgkmcnt(1)
	global_store_dwordx4 v[18:19], v[6:9], off
	;; [unrolled: 2-line block ×3, first 2 shown]
	global_store_dwordx4 v[24:25], v[10:13], off
	s_and_b32 exec_lo, exec_lo, vcc_lo
	s_cbranch_execz .LBB0_20
; %bb.19:
	v_mov_b32_e32 v2, 0
	v_add_co_u32 v0, vcc_lo, 0xc800, v0
	v_add_co_ci_u32_e32 v1, vcc_lo, 0, v1, vcc_lo
	ds_read_b128 v[2:5], v2 offset:51840
	s_waitcnt lgkmcnt(0)
	global_store_dwordx4 v[0:1], v[2:5], off offset:640
.LBB0_20:
	s_endpgm
	.section	.rodata,"a",@progbits
	.p2align	6, 0x0
	.amdhsa_kernel fft_rtc_back_len3240_factors_3_3_10_6_6_wgs_108_tpt_108_halfLds_dp_op_CI_CI_unitstride_sbrr_R2C_dirReg
		.amdhsa_group_segment_fixed_size 0
		.amdhsa_private_segment_fixed_size 0
		.amdhsa_kernarg_size 104
		.amdhsa_user_sgpr_count 6
		.amdhsa_user_sgpr_private_segment_buffer 1
		.amdhsa_user_sgpr_dispatch_ptr 0
		.amdhsa_user_sgpr_queue_ptr 0
		.amdhsa_user_sgpr_kernarg_segment_ptr 1
		.amdhsa_user_sgpr_dispatch_id 0
		.amdhsa_user_sgpr_flat_scratch_init 0
		.amdhsa_user_sgpr_private_segment_size 0
		.amdhsa_wavefront_size32 1
		.amdhsa_uses_dynamic_stack 0
		.amdhsa_system_sgpr_private_segment_wavefront_offset 0
		.amdhsa_system_sgpr_workgroup_id_x 1
		.amdhsa_system_sgpr_workgroup_id_y 0
		.amdhsa_system_sgpr_workgroup_id_z 0
		.amdhsa_system_sgpr_workgroup_info 0
		.amdhsa_system_vgpr_workitem_id 0
		.amdhsa_next_free_vgpr 205
		.amdhsa_next_free_sgpr 27
		.amdhsa_reserve_vcc 1
		.amdhsa_reserve_flat_scratch 0
		.amdhsa_float_round_mode_32 0
		.amdhsa_float_round_mode_16_64 0
		.amdhsa_float_denorm_mode_32 3
		.amdhsa_float_denorm_mode_16_64 3
		.amdhsa_dx10_clamp 1
		.amdhsa_ieee_mode 1
		.amdhsa_fp16_overflow 0
		.amdhsa_workgroup_processor_mode 1
		.amdhsa_memory_ordered 1
		.amdhsa_forward_progress 0
		.amdhsa_shared_vgpr_count 0
		.amdhsa_exception_fp_ieee_invalid_op 0
		.amdhsa_exception_fp_denorm_src 0
		.amdhsa_exception_fp_ieee_div_zero 0
		.amdhsa_exception_fp_ieee_overflow 0
		.amdhsa_exception_fp_ieee_underflow 0
		.amdhsa_exception_fp_ieee_inexact 0
		.amdhsa_exception_int_div_zero 0
	.end_amdhsa_kernel
	.text
.Lfunc_end0:
	.size	fft_rtc_back_len3240_factors_3_3_10_6_6_wgs_108_tpt_108_halfLds_dp_op_CI_CI_unitstride_sbrr_R2C_dirReg, .Lfunc_end0-fft_rtc_back_len3240_factors_3_3_10_6_6_wgs_108_tpt_108_halfLds_dp_op_CI_CI_unitstride_sbrr_R2C_dirReg
                                        ; -- End function
	.section	.AMDGPU.csdata,"",@progbits
; Kernel info:
; codeLenInByte = 25968
; NumSgprs: 29
; NumVgprs: 205
; ScratchSize: 0
; MemoryBound: 0
; FloatMode: 240
; IeeeMode: 1
; LDSByteSize: 0 bytes/workgroup (compile time only)
; SGPRBlocks: 3
; VGPRBlocks: 25
; NumSGPRsForWavesPerEU: 29
; NumVGPRsForWavesPerEU: 205
; Occupancy: 4
; WaveLimiterHint : 1
; COMPUTE_PGM_RSRC2:SCRATCH_EN: 0
; COMPUTE_PGM_RSRC2:USER_SGPR: 6
; COMPUTE_PGM_RSRC2:TRAP_HANDLER: 0
; COMPUTE_PGM_RSRC2:TGID_X_EN: 1
; COMPUTE_PGM_RSRC2:TGID_Y_EN: 0
; COMPUTE_PGM_RSRC2:TGID_Z_EN: 0
; COMPUTE_PGM_RSRC2:TIDIG_COMP_CNT: 0
	.text
	.p2alignl 6, 3214868480
	.fill 48, 4, 3214868480
	.type	__hip_cuid_ce8e6f3e4c058fdd,@object ; @__hip_cuid_ce8e6f3e4c058fdd
	.section	.bss,"aw",@nobits
	.globl	__hip_cuid_ce8e6f3e4c058fdd
__hip_cuid_ce8e6f3e4c058fdd:
	.byte	0                               ; 0x0
	.size	__hip_cuid_ce8e6f3e4c058fdd, 1

	.ident	"AMD clang version 19.0.0git (https://github.com/RadeonOpenCompute/llvm-project roc-6.4.0 25133 c7fe45cf4b819c5991fe208aaa96edf142730f1d)"
	.section	".note.GNU-stack","",@progbits
	.addrsig
	.addrsig_sym __hip_cuid_ce8e6f3e4c058fdd
	.amdgpu_metadata
---
amdhsa.kernels:
  - .args:
      - .actual_access:  read_only
        .address_space:  global
        .offset:         0
        .size:           8
        .value_kind:     global_buffer
      - .offset:         8
        .size:           8
        .value_kind:     by_value
      - .actual_access:  read_only
        .address_space:  global
        .offset:         16
        .size:           8
        .value_kind:     global_buffer
      - .actual_access:  read_only
        .address_space:  global
        .offset:         24
        .size:           8
        .value_kind:     global_buffer
      - .actual_access:  read_only
        .address_space:  global
        .offset:         32
        .size:           8
        .value_kind:     global_buffer
      - .offset:         40
        .size:           8
        .value_kind:     by_value
      - .actual_access:  read_only
        .address_space:  global
        .offset:         48
        .size:           8
        .value_kind:     global_buffer
      - .actual_access:  read_only
        .address_space:  global
        .offset:         56
        .size:           8
        .value_kind:     global_buffer
      - .offset:         64
        .size:           4
        .value_kind:     by_value
      - .actual_access:  read_only
        .address_space:  global
        .offset:         72
        .size:           8
        .value_kind:     global_buffer
      - .actual_access:  read_only
        .address_space:  global
        .offset:         80
        .size:           8
        .value_kind:     global_buffer
      - .actual_access:  read_only
        .address_space:  global
        .offset:         88
        .size:           8
        .value_kind:     global_buffer
      - .actual_access:  write_only
        .address_space:  global
        .offset:         96
        .size:           8
        .value_kind:     global_buffer
    .group_segment_fixed_size: 0
    .kernarg_segment_align: 8
    .kernarg_segment_size: 104
    .language:       OpenCL C
    .language_version:
      - 2
      - 0
    .max_flat_workgroup_size: 108
    .name:           fft_rtc_back_len3240_factors_3_3_10_6_6_wgs_108_tpt_108_halfLds_dp_op_CI_CI_unitstride_sbrr_R2C_dirReg
    .private_segment_fixed_size: 0
    .sgpr_count:     29
    .sgpr_spill_count: 0
    .symbol:         fft_rtc_back_len3240_factors_3_3_10_6_6_wgs_108_tpt_108_halfLds_dp_op_CI_CI_unitstride_sbrr_R2C_dirReg.kd
    .uniform_work_group_size: 1
    .uses_dynamic_stack: false
    .vgpr_count:     205
    .vgpr_spill_count: 0
    .wavefront_size: 32
    .workgroup_processor_mode: 1
amdhsa.target:   amdgcn-amd-amdhsa--gfx1030
amdhsa.version:
  - 1
  - 2
...

	.end_amdgpu_metadata
